;; amdgpu-corpus repo=ROCm/rocFFT kind=compiled arch=gfx1030 opt=O3
	.text
	.amdgcn_target "amdgcn-amd-amdhsa--gfx1030"
	.amdhsa_code_object_version 6
	.protected	fft_rtc_fwd_len1875_factors_5_5_5_5_3_wgs_250_tpt_125_halfLds_half_op_CI_CI_unitstride_sbrr_dirReg ; -- Begin function fft_rtc_fwd_len1875_factors_5_5_5_5_3_wgs_250_tpt_125_halfLds_half_op_CI_CI_unitstride_sbrr_dirReg
	.globl	fft_rtc_fwd_len1875_factors_5_5_5_5_3_wgs_250_tpt_125_halfLds_half_op_CI_CI_unitstride_sbrr_dirReg
	.p2align	8
	.type	fft_rtc_fwd_len1875_factors_5_5_5_5_3_wgs_250_tpt_125_halfLds_half_op_CI_CI_unitstride_sbrr_dirReg,@function
fft_rtc_fwd_len1875_factors_5_5_5_5_3_wgs_250_tpt_125_halfLds_half_op_CI_CI_unitstride_sbrr_dirReg: ; @fft_rtc_fwd_len1875_factors_5_5_5_5_3_wgs_250_tpt_125_halfLds_half_op_CI_CI_unitstride_sbrr_dirReg
; %bb.0:
	s_clause 0x2
	s_load_dwordx4 s[12:15], s[4:5], 0x0
	s_load_dwordx4 s[8:11], s[4:5], 0x58
	;; [unrolled: 1-line block ×3, first 2 shown]
	v_mul_u32_u24_e32 v1, 0x20d, v0
	v_mov_b32_e32 v8, 0
	v_lshrrev_b32_e32 v3, 16, v1
	v_mov_b32_e32 v1, 0
	v_mov_b32_e32 v11, v8
	v_mov_b32_e32 v2, 0
	v_lshl_add_u32 v10, s6, 1, v3
	s_waitcnt lgkmcnt(0)
	v_cmp_lt_u64_e64 s0, s[14:15], 2
	s_and_b32 vcc_lo, exec_lo, s0
	s_cbranch_vccnz .LBB0_8
; %bb.1:
	s_load_dwordx2 s[0:1], s[4:5], 0x10
	v_mov_b32_e32 v1, 0
	v_mov_b32_e32 v2, 0
	s_add_u32 s2, s18, 8
	s_addc_u32 s3, s19, 0
	s_add_u32 s6, s16, 8
	s_addc_u32 s7, s17, 0
	v_mov_b32_e32 v5, v2
	v_mov_b32_e32 v4, v1
	s_mov_b64 s[22:23], 1
	s_waitcnt lgkmcnt(0)
	s_add_u32 s20, s0, 8
	s_addc_u32 s21, s1, 0
.LBB0_2:                                ; =>This Inner Loop Header: Depth=1
	s_load_dwordx2 s[24:25], s[20:21], 0x0
                                        ; implicit-def: $vgpr6_vgpr7
	s_mov_b32 s0, exec_lo
	s_waitcnt lgkmcnt(0)
	v_or_b32_e32 v9, s25, v11
	v_cmpx_ne_u64_e32 0, v[8:9]
	s_xor_b32 s1, exec_lo, s0
	s_cbranch_execz .LBB0_4
; %bb.3:                                ;   in Loop: Header=BB0_2 Depth=1
	v_cvt_f32_u32_e32 v6, s24
	v_cvt_f32_u32_e32 v7, s25
	s_sub_u32 s0, 0, s24
	s_subb_u32 s26, 0, s25
	v_fmac_f32_e32 v6, 0x4f800000, v7
	v_rcp_f32_e32 v6, v6
	v_mul_f32_e32 v6, 0x5f7ffffc, v6
	v_mul_f32_e32 v7, 0x2f800000, v6
	v_trunc_f32_e32 v7, v7
	v_fmac_f32_e32 v6, 0xcf800000, v7
	v_cvt_u32_f32_e32 v7, v7
	v_cvt_u32_f32_e32 v6, v6
	v_mul_lo_u32 v9, s0, v7
	v_mul_hi_u32 v12, s0, v6
	v_mul_lo_u32 v13, s26, v6
	v_add_nc_u32_e32 v9, v12, v9
	v_mul_lo_u32 v12, s0, v6
	v_add_nc_u32_e32 v9, v9, v13
	v_mul_hi_u32 v13, v6, v12
	v_mul_lo_u32 v14, v6, v9
	v_mul_hi_u32 v15, v6, v9
	v_mul_hi_u32 v16, v7, v12
	v_mul_lo_u32 v12, v7, v12
	v_mul_hi_u32 v17, v7, v9
	v_mul_lo_u32 v9, v7, v9
	v_add_co_u32 v13, vcc_lo, v13, v14
	v_add_co_ci_u32_e32 v14, vcc_lo, 0, v15, vcc_lo
	v_add_co_u32 v12, vcc_lo, v13, v12
	v_add_co_ci_u32_e32 v12, vcc_lo, v14, v16, vcc_lo
	v_add_co_ci_u32_e32 v13, vcc_lo, 0, v17, vcc_lo
	v_add_co_u32 v9, vcc_lo, v12, v9
	v_add_co_ci_u32_e32 v12, vcc_lo, 0, v13, vcc_lo
	v_add_co_u32 v6, vcc_lo, v6, v9
	v_add_co_ci_u32_e32 v7, vcc_lo, v7, v12, vcc_lo
	v_mul_hi_u32 v9, s0, v6
	v_mul_lo_u32 v13, s26, v6
	v_mul_lo_u32 v12, s0, v7
	v_add_nc_u32_e32 v9, v9, v12
	v_mul_lo_u32 v12, s0, v6
	v_add_nc_u32_e32 v9, v9, v13
	v_mul_hi_u32 v13, v6, v12
	v_mul_lo_u32 v14, v6, v9
	v_mul_hi_u32 v15, v6, v9
	v_mul_hi_u32 v16, v7, v12
	v_mul_lo_u32 v12, v7, v12
	v_mul_hi_u32 v17, v7, v9
	v_mul_lo_u32 v9, v7, v9
	v_add_co_u32 v13, vcc_lo, v13, v14
	v_add_co_ci_u32_e32 v14, vcc_lo, 0, v15, vcc_lo
	v_add_co_u32 v12, vcc_lo, v13, v12
	v_add_co_ci_u32_e32 v12, vcc_lo, v14, v16, vcc_lo
	v_add_co_ci_u32_e32 v13, vcc_lo, 0, v17, vcc_lo
	v_add_co_u32 v9, vcc_lo, v12, v9
	v_add_co_ci_u32_e32 v12, vcc_lo, 0, v13, vcc_lo
	v_add_co_u32 v9, vcc_lo, v6, v9
	v_add_co_ci_u32_e32 v14, vcc_lo, v7, v12, vcc_lo
	v_mul_hi_u32 v16, v10, v9
	v_mad_u64_u32 v[12:13], null, v11, v9, 0
	v_mad_u64_u32 v[6:7], null, v10, v14, 0
	v_mad_u64_u32 v[14:15], null, v11, v14, 0
	v_add_co_u32 v6, vcc_lo, v16, v6
	v_add_co_ci_u32_e32 v7, vcc_lo, 0, v7, vcc_lo
	v_add_co_u32 v6, vcc_lo, v6, v12
	v_add_co_ci_u32_e32 v6, vcc_lo, v7, v13, vcc_lo
	v_add_co_ci_u32_e32 v7, vcc_lo, 0, v15, vcc_lo
	v_add_co_u32 v9, vcc_lo, v6, v14
	v_add_co_ci_u32_e32 v12, vcc_lo, 0, v7, vcc_lo
	v_mul_lo_u32 v13, s25, v9
	v_mad_u64_u32 v[6:7], null, s24, v9, 0
	v_mul_lo_u32 v14, s24, v12
	v_sub_co_u32 v6, vcc_lo, v10, v6
	v_add3_u32 v7, v7, v14, v13
	v_sub_nc_u32_e32 v13, v11, v7
	v_subrev_co_ci_u32_e64 v13, s0, s25, v13, vcc_lo
	v_add_co_u32 v14, s0, v9, 2
	v_add_co_ci_u32_e64 v15, s0, 0, v12, s0
	v_sub_co_u32 v16, s0, v6, s24
	v_sub_co_ci_u32_e32 v7, vcc_lo, v11, v7, vcc_lo
	v_subrev_co_ci_u32_e64 v13, s0, 0, v13, s0
	v_cmp_le_u32_e32 vcc_lo, s24, v16
	v_cmp_eq_u32_e64 s0, s25, v7
	v_cndmask_b32_e64 v16, 0, -1, vcc_lo
	v_cmp_le_u32_e32 vcc_lo, s25, v13
	v_cndmask_b32_e64 v17, 0, -1, vcc_lo
	v_cmp_le_u32_e32 vcc_lo, s24, v6
	;; [unrolled: 2-line block ×3, first 2 shown]
	v_cndmask_b32_e64 v18, 0, -1, vcc_lo
	v_cmp_eq_u32_e32 vcc_lo, s25, v13
	v_cndmask_b32_e64 v6, v18, v6, s0
	v_cndmask_b32_e32 v13, v17, v16, vcc_lo
	v_add_co_u32 v16, vcc_lo, v9, 1
	v_add_co_ci_u32_e32 v17, vcc_lo, 0, v12, vcc_lo
	v_cmp_ne_u32_e32 vcc_lo, 0, v13
	v_cndmask_b32_e32 v7, v17, v15, vcc_lo
	v_cndmask_b32_e32 v13, v16, v14, vcc_lo
	v_cmp_ne_u32_e32 vcc_lo, 0, v6
	v_cndmask_b32_e32 v7, v12, v7, vcc_lo
	v_cndmask_b32_e32 v6, v9, v13, vcc_lo
.LBB0_4:                                ;   in Loop: Header=BB0_2 Depth=1
	s_andn2_saveexec_b32 s0, s1
	s_cbranch_execz .LBB0_6
; %bb.5:                                ;   in Loop: Header=BB0_2 Depth=1
	v_cvt_f32_u32_e32 v6, s24
	s_sub_i32 s1, 0, s24
	v_rcp_iflag_f32_e32 v6, v6
	v_mul_f32_e32 v6, 0x4f7ffffe, v6
	v_cvt_u32_f32_e32 v6, v6
	v_mul_lo_u32 v7, s1, v6
	v_mul_hi_u32 v7, v6, v7
	v_add_nc_u32_e32 v6, v6, v7
	v_mul_hi_u32 v6, v10, v6
	v_mul_lo_u32 v7, v6, s24
	v_add_nc_u32_e32 v9, 1, v6
	v_sub_nc_u32_e32 v7, v10, v7
	v_subrev_nc_u32_e32 v12, s24, v7
	v_cmp_le_u32_e32 vcc_lo, s24, v7
	v_cndmask_b32_e32 v7, v7, v12, vcc_lo
	v_cndmask_b32_e32 v6, v6, v9, vcc_lo
	v_cmp_le_u32_e32 vcc_lo, s24, v7
	v_add_nc_u32_e32 v9, 1, v6
	v_mov_b32_e32 v7, v8
	v_cndmask_b32_e32 v6, v6, v9, vcc_lo
.LBB0_6:                                ;   in Loop: Header=BB0_2 Depth=1
	s_or_b32 exec_lo, exec_lo, s0
	v_mul_lo_u32 v9, v7, s24
	v_mul_lo_u32 v14, v6, s25
	s_load_dwordx2 s[0:1], s[6:7], 0x0
	v_mad_u64_u32 v[12:13], null, v6, s24, 0
	s_load_dwordx2 s[24:25], s[2:3], 0x0
	s_add_u32 s22, s22, 1
	s_addc_u32 s23, s23, 0
	s_add_u32 s2, s2, 8
	s_addc_u32 s3, s3, 0
	s_add_u32 s6, s6, 8
	v_add3_u32 v9, v13, v14, v9
	v_sub_co_u32 v10, vcc_lo, v10, v12
	s_addc_u32 s7, s7, 0
	s_add_u32 s20, s20, 8
	v_sub_co_ci_u32_e32 v9, vcc_lo, v11, v9, vcc_lo
	s_addc_u32 s21, s21, 0
	s_waitcnt lgkmcnt(0)
	v_mul_lo_u32 v11, s0, v9
	v_mul_lo_u32 v12, s1, v10
	v_mad_u64_u32 v[1:2], null, s0, v10, v[1:2]
	v_mul_lo_u32 v9, s24, v9
	v_mul_lo_u32 v13, s25, v10
	v_mad_u64_u32 v[4:5], null, s24, v10, v[4:5]
	v_cmp_ge_u64_e64 s0, s[22:23], s[14:15]
	v_add3_u32 v2, v12, v2, v11
	v_add3_u32 v5, v13, v5, v9
	s_and_b32 vcc_lo, exec_lo, s0
	s_cbranch_vccnz .LBB0_9
; %bb.7:                                ;   in Loop: Header=BB0_2 Depth=1
	v_mov_b32_e32 v11, v7
	v_mov_b32_e32 v10, v6
	s_branch .LBB0_2
.LBB0_8:
	v_mov_b32_e32 v5, v2
	v_mov_b32_e32 v6, v10
	;; [unrolled: 1-line block ×4, first 2 shown]
.LBB0_9:
	s_load_dwordx2 s[0:1], s[4:5], 0x28
	v_mul_hi_u32 v14, 0x20c49bb, v0
	s_lshl_b64 s[4:5], s[14:15], 3
                                        ; implicit-def: $vgpr10
	s_add_u32 s2, s18, s4
	s_addc_u32 s3, s19, s5
	s_waitcnt lgkmcnt(0)
	v_cmp_gt_u64_e32 vcc_lo, s[0:1], v[6:7]
	v_cmp_le_u64_e64 s0, s[0:1], v[6:7]
	s_and_saveexec_b32 s1, s0
	s_xor_b32 s0, exec_lo, s1
; %bb.10:
	v_mul_u32_u24_e32 v1, 0x7d, v14
                                        ; implicit-def: $vgpr14
	v_sub_nc_u32_e32 v10, v0, v1
                                        ; implicit-def: $vgpr0
                                        ; implicit-def: $vgpr1_vgpr2
; %bb.11:
	s_or_saveexec_b32 s1, s0
                                        ; implicit-def: $vgpr13
                                        ; implicit-def: $vgpr22
                                        ; implicit-def: $vgpr16
                                        ; implicit-def: $vgpr21
                                        ; implicit-def: $vgpr17
                                        ; implicit-def: $vgpr23
                                        ; implicit-def: $vgpr18
                                        ; implicit-def: $vgpr19
                                        ; implicit-def: $vgpr9
                                        ; implicit-def: $vgpr12
                                        ; implicit-def: $vgpr27
                                        ; implicit-def: $vgpr31
                                        ; implicit-def: $vgpr28
                                        ; implicit-def: $vgpr25
                                        ; implicit-def: $vgpr30
                                        ; implicit-def: $vgpr26
                                        ; implicit-def: $vgpr29
                                        ; implicit-def: $vgpr24
                                        ; implicit-def: $vgpr15
                                        ; implicit-def: $vgpr8
                                        ; implicit-def: $vgpr36
                                        ; implicit-def: $vgpr35
                                        ; implicit-def: $vgpr37
                                        ; implicit-def: $vgpr33
                                        ; implicit-def: $vgpr39
                                        ; implicit-def: $vgpr34
                                        ; implicit-def: $vgpr38
                                        ; implicit-def: $vgpr32
                                        ; implicit-def: $vgpr20
                                        ; implicit-def: $vgpr11
	s_xor_b32 exec_lo, exec_lo, s1
	s_cbranch_execz .LBB0_13
; %bb.12:
	s_add_u32 s4, s16, s4
	s_addc_u32 s5, s17, s5
	v_lshlrev_b64 v[1:2], 2, v[1:2]
	s_load_dwordx2 s[4:5], s[4:5], 0x0
	s_waitcnt lgkmcnt(0)
	v_mul_lo_u32 v10, s5, v6
	v_mul_lo_u32 v11, s4, v7
	v_mad_u64_u32 v[8:9], null, s4, v6, 0
	v_add3_u32 v9, v9, v11, v10
	v_mul_u32_u24_e32 v10, 0x7d, v14
	v_lshlrev_b64 v[8:9], 2, v[8:9]
	v_sub_nc_u32_e32 v10, v0, v10
	v_add_co_u32 v0, s0, s8, v8
	v_add_co_ci_u32_e64 v8, s0, s9, v9, s0
	v_lshlrev_b32_e32 v9, 2, v10
	v_add_co_u32 v0, s0, v0, v1
	v_add_co_ci_u32_e64 v1, s0, v8, v2, s0
	v_add_co_u32 v0, s0, v0, v9
	v_add_co_ci_u32_e64 v1, s0, 0, v1, s0
	s_clause 0x3
	global_load_dword v11, v[0:1], off
	global_load_dword v8, v[0:1], off offset:500
	global_load_dword v32, v[0:1], off offset:1500
	;; [unrolled: 1-line block ×3, first 2 shown]
	v_add_co_u32 v13, s0, 0x800, v0
	v_add_co_ci_u32_e64 v14, s0, 0, v1, s0
	v_add_co_u32 v15, s0, 0x1000, v0
	v_add_co_ci_u32_e64 v16, s0, 0, v1, s0
	;; [unrolled: 2-line block ×3, first 2 shown]
	s_clause 0xa
	global_load_dword v35, v[15:16], off offset:1904
	global_load_dword v34, v[13:14], off offset:952
	;; [unrolled: 1-line block ×11, first 2 shown]
	s_waitcnt vmcnt(14)
	v_lshrrev_b32_e32 v20, 16, v11
	s_waitcnt vmcnt(13)
	v_lshrrev_b32_e32 v15, 16, v8
	;; [unrolled: 2-line block ×15, first 2 shown]
.LBB0_13:
	s_or_b32 exec_lo, exec_lo, s1
	v_add_f16_e32 v0, v33, v34
	v_add_f16_e32 v1, v32, v11
	v_sub_f16_e32 v2, v38, v36
	v_add_f16_e32 v42, v35, v32
	v_sub_f16_e32 v40, v39, v37
	v_fma_f16 v41, -0.5, v0, v11
	v_add_f16_e32 v1, v34, v1
	v_sub_f16_e32 v0, v32, v34
	v_sub_f16_e32 v14, v35, v33
	v_and_b32_e32 v3, 1, v3
	v_fmamk_f16 v43, v2, 0x3b9c, v41
	v_fmac_f16_e32 v11, -0.5, v42
	v_add_f16_e32 v1, v33, v1
	v_fmac_f16_e32 v41, 0xbb9c, v2
	v_add_f16_e32 v45, v38, v20
	v_add_f16_e32 v0, v14, v0
	v_fmac_f16_e32 v43, 0x38b4, v40
	v_cmp_eq_u32_e64 s0, 1, v3
	v_add_f16_e32 v3, v35, v1
	v_fmamk_f16 v1, v40, 0xbb9c, v11
	v_sub_f16_e32 v42, v34, v32
	v_sub_f16_e32 v44, v33, v35
	v_fmac_f16_e32 v41, 0xb8b4, v40
	v_add_f16_e32 v46, v37, v39
	v_fmac_f16_e32 v11, 0x3b9c, v40
	v_add_f16_e32 v40, v39, v45
	v_fmac_f16_e32 v43, 0x34f2, v0
	v_fmac_f16_e32 v1, 0x38b4, v2
	v_add_f16_e32 v42, v44, v42
	v_fma_f16 v44, -0.5, v46, v20
	v_sub_f16_e32 v32, v32, v35
	v_fmac_f16_e32 v41, 0x34f2, v0
	v_fmac_f16_e32 v11, 0xb8b4, v2
	v_add_f16_e32 v0, v37, v40
	v_sub_f16_e32 v2, v34, v33
	v_sub_f16_e32 v33, v38, v39
	;; [unrolled: 1-line block ×3, first 2 shown]
	v_fmac_f16_e32 v1, 0x34f2, v42
	v_fmamk_f16 v40, v32, 0xbb9c, v44
	v_fmac_f16_e32 v11, 0x34f2, v42
	v_add_f16_e32 v42, v36, v0
	v_add_f16_e32 v0, v34, v33
	v_fmac_f16_e32 v44, 0x3b9c, v32
	v_sub_f16_e32 v33, v39, v38
	v_sub_f16_e32 v34, v37, v36
	v_add_f16_e32 v35, v36, v38
	v_fmac_f16_e32 v40, 0xb8b4, v2
	v_fmac_f16_e32 v44, 0x38b4, v2
	v_add_f16_e32 v46, v31, v24
	v_add_f16_e32 v33, v34, v33
	;; [unrolled: 1-line block ×3, first 2 shown]
	v_fmac_f16_e32 v20, -0.5, v35
	v_fmac_f16_e32 v40, 0x34f2, v0
	v_add_f16_e32 v35, v25, v26
	v_fmac_f16_e32 v44, 0x34f2, v0
	v_add_f16_e32 v0, v26, v34
	v_fmamk_f16 v39, v2, 0x3b9c, v20
	v_sub_f16_e32 v36, v29, v27
	v_fma_f16 v35, -0.5, v35, v8
	v_sub_f16_e32 v34, v30, v28
	v_sub_f16_e32 v37, v24, v26
	;; [unrolled: 1-line block ×3, first 2 shown]
	v_fmac_f16_e32 v20, 0xbb9c, v2
	v_add_f16_e32 v0, v25, v0
	v_fmac_f16_e32 v8, -0.5, v46
	v_fmac_f16_e32 v39, 0xb8b4, v32
	v_mul_f16_e32 v45, 0x34f2, v33
	v_fmamk_f16 v33, v36, 0x3b9c, v35
	v_add_f16_e32 v2, v38, v37
	v_fmac_f16_e32 v20, 0x38b4, v32
	v_add_f16_e32 v32, v31, v0
	v_fmac_f16_e32 v35, 0xbb9c, v36
	v_fmamk_f16 v37, v34, 0xbb9c, v8
	v_sub_f16_e32 v0, v26, v24
	v_sub_f16_e32 v38, v25, v31
	v_add_f16_e32 v46, v29, v15
	v_fmac_f16_e32 v8, 0x3b9c, v34
	v_fmac_f16_e32 v33, 0x38b4, v34
	;; [unrolled: 1-line block ×4, first 2 shown]
	v_add_f16_e32 v0, v38, v0
	v_add_f16_e32 v34, v30, v46
	v_fmac_f16_e32 v8, 0xb8b4, v36
	v_fmac_f16_e32 v33, 0x34f2, v2
	v_add_f16_e32 v47, v28, v30
	v_sub_f16_e32 v24, v24, v31
	v_fmac_f16_e32 v35, 0x34f2, v2
	v_fmac_f16_e32 v37, 0x34f2, v0
	v_add_f16_e32 v2, v28, v34
	v_sub_f16_e32 v25, v26, v25
	v_sub_f16_e32 v26, v29, v30
	;; [unrolled: 1-line block ×3, first 2 shown]
	v_fmac_f16_e32 v8, 0x34f2, v0
	v_add_f16_e32 v0, v27, v29
	v_fma_f16 v46, -0.5, v47, v15
	v_add_f16_e32 v48, v27, v2
	v_add_f16_e32 v2, v31, v26
	v_sub_f16_e32 v26, v28, v27
	v_fmac_f16_e32 v15, -0.5, v0
	v_sub_f16_e32 v0, v30, v29
	v_fmamk_f16 v47, v24, 0xbb9c, v46
	v_fmac_f16_e32 v46, 0x3b9c, v24
	v_add_f16_e32 v27, v21, v23
	v_add_f16_e32 v31, v22, v19
	;; [unrolled: 1-line block ×4, first 2 shown]
	v_fmac_f16_e32 v47, 0xb8b4, v25
	v_fmac_f16_e32 v46, 0x38b4, v25
	v_fmamk_f16 v49, v25, 0x3b9c, v15
	v_mul_f16_e32 v50, 0x34f2, v0
	v_add_f16_e32 v0, v23, v26
	v_fmac_f16_e32 v47, 0x34f2, v2
	v_fma_f16 v27, -0.5, v27, v12
	v_sub_f16_e32 v28, v18, v13
	v_fmac_f16_e32 v46, 0x34f2, v2
	v_sub_f16_e32 v2, v17, v16
	v_sub_f16_e32 v29, v19, v23
	;; [unrolled: 1-line block ×3, first 2 shown]
	v_fmac_f16_e32 v15, 0xbb9c, v25
	v_add_f16_e32 v0, v21, v0
	v_fmac_f16_e32 v12, -0.5, v31
	v_fmac_f16_e32 v49, 0xb8b4, v24
	v_fmamk_f16 v26, v28, 0x3b9c, v27
	v_add_f16_e32 v25, v30, v29
	v_fmac_f16_e32 v15, 0x38b4, v24
	v_add_f16_e32 v24, v22, v0
	v_fmac_f16_e32 v27, 0xbb9c, v28
	v_fmamk_f16 v29, v2, 0xbb9c, v12
	v_sub_f16_e32 v0, v23, v19
	v_sub_f16_e32 v30, v21, v22
	v_add_f16_e32 v31, v18, v9
	v_add_f16_e32 v34, v16, v17
	v_fmac_f16_e32 v12, 0x3b9c, v2
	v_fmac_f16_e32 v26, 0x38b4, v2
	v_fmac_f16_e32 v27, 0xb8b4, v2
	v_fmac_f16_e32 v29, 0x38b4, v28
	v_add_f16_e32 v0, v30, v0
	v_add_f16_e32 v2, v17, v31
	v_fma_f16 v51, -0.5, v34, v9
	v_sub_f16_e32 v19, v19, v22
	v_fmac_f16_e32 v12, 0xb8b4, v28
	v_cndmask_b32_e64 v14, 0, 0xea6, s0
	v_fmac_f16_e32 v26, 0x34f2, v25
	v_fmac_f16_e32 v27, 0x34f2, v25
	;; [unrolled: 1-line block ×3, first 2 shown]
	v_add_f16_e32 v2, v16, v2
	v_fmamk_f16 v22, v19, 0xbb9c, v51
	v_sub_f16_e32 v21, v23, v21
	v_sub_f16_e32 v23, v18, v17
	;; [unrolled: 1-line block ×3, first 2 shown]
	v_fmac_f16_e32 v12, 0x34f2, v0
	v_add_f16_e32 v0, v13, v18
	v_fmac_f16_e32 v51, 0x3b9c, v19
	v_add_f16_e32 v52, v13, v2
	;; [unrolled: 2-line block ×3, first 2 shown]
	v_fmac_f16_e32 v9, -0.5, v0
	v_sub_f16_e32 v0, v17, v18
	v_sub_f16_e32 v16, v16, v13
	v_add_nc_u32_e32 v13, 0, v14
	v_fmac_f16_e32 v51, 0x38b4, v21
	v_fmac_f16_e32 v22, 0x34f2, v2
	v_pack_b32_f16 v1, v1, v11
	v_add_f16_e32 v16, v16, v0
	v_mad_u32_u24 v25, v10, 10, v13
	v_pack_b32_f16 v0, v3, v43
	v_fmac_f16_e32 v51, 0x34f2, v2
	v_pack_b32_f16 v3, v37, v8
	v_pack_b32_f16 v2, v32, v33
	s_load_dwordx2 s[2:3], s[2:3], 0x0
	ds_write_b64 v25, v[0:1]
	ds_write_b16 v25, v41 offset:8
	v_pack_b32_f16 v1, v29, v12
	v_pack_b32_f16 v0, v24, v26
	ds_write_b64 v25, v[2:3] offset:1250
	ds_write_b16 v25, v35 offset:1258
	v_lshlrev_b32_e32 v2, 3, v10
	v_fmamk_f16 v23, v21, 0x3b9c, v9
	v_fmac_f16_e32 v9, 0xbb9c, v21
	ds_write_b64 v25, v[0:1] offset:2500
	ds_write_b16 v25, v27 offset:2508
	v_pack_b32_f16 v0, v39, v20
	v_sub_nc_u32_e32 v12, v25, v2
	v_pack_b32_f16 v2, v49, v15
	v_fmac_f16_e32 v23, 0xb8b4, v19
	v_mul_f16_e32 v43, 0x34f2, v16
	v_fmac_f16_e32 v9, 0x38b4, v19
	v_and_b32_e32 v16, 0xff, v10
	v_lshl_add_u32 v11, v10, 1, v13
	v_pk_add_f16 v1, v45, v0 op_sel_hi:[0,1]
	v_pack_b32_f16 v0, v42, v40
	v_pk_add_f16 v3, v50, v2 op_sel_hi:[0,1]
	v_pack_b32_f16 v2, v48, v47
	v_mul_lo_u16 v15, 0xcd, v16
	v_pack_b32_f16 v9, v23, v9
	v_add_nc_u32_e32 v8, 0xfa, v10
	s_waitcnt lgkmcnt(0)
	s_barrier
	buffer_gl0_inv
	ds_read_u16 v18, v11
	ds_read_u16 v17, v12 offset:250
	ds_read_u16 v27, v12 offset:1750
	;; [unrolled: 1-line block ×14, first 2 shown]
	s_waitcnt lgkmcnt(0)
	s_barrier
	buffer_gl0_inv
	ds_write_b64 v25, v[0:1]
	ds_write_b16 v25, v44 offset:8
	ds_write_b64 v25, v[2:3] offset:1250
	v_mov_b32_e32 v2, 0xcccd
	v_lshrrev_b16 v21, 10, v15
	v_pk_add_f16 v1, v43, v9 op_sel_hi:[0,1]
	v_pack_b32_f16 v0, v52, v22
	ds_write_b16 v25, v46 offset:1258
	ds_write_b64 v25, v[0:1] offset:2500
	ds_write_b16 v25, v51 offset:2508
	v_mul_u32_u24_sdwa v0, v8, v2 dst_sel:DWORD dst_unused:UNUSED_PAD src0_sel:WORD_0 src1_sel:DWORD
	v_mul_lo_u16 v15, v21, 5
	v_add_nc_u32_e32 v9, 0x7d, v10
	s_waitcnt lgkmcnt(0)
	s_barrier
	v_lshrrev_b32_e32 v22, 18, v0
	v_sub_nc_u16 v24, v10, v15
	v_mov_b32_e32 v15, 4
	v_and_b32_e32 v20, 0xff, v9
	buffer_gl0_inv
	v_mul_lo_u16 v0, v22, 5
	v_and_b32_e32 v21, 0xffff, v21
	v_lshlrev_b32_sdwa v1, v15, v24 dst_sel:DWORD dst_unused:UNUSED_PAD src0_sel:DWORD src1_sel:BYTE_0
	v_mul_lo_u16 v16, v16, 41
	v_sub_nc_u16 v23, v8, v0
	v_mul_lo_u16 v0, 0xcd, v20
	global_load_dwordx4 v[39:42], v1, s[12:13]
	v_lshrrev_b16 v16, 10, v16
	v_lshlrev_b32_sdwa v1, v15, v23 dst_sel:DWORD dst_unused:UNUSED_PAD src0_sel:DWORD src1_sel:WORD_0
	v_lshrrev_b16 v26, 10, v0
	global_load_dwordx4 v[43:46], v1, s[12:13]
	v_mul_lo_u16 v0, v26, 5
	v_sub_nc_u16 v25, v9, v0
	v_lshlrev_b32_sdwa v0, v15, v25 dst_sel:DWORD dst_unused:UNUSED_PAD src0_sel:DWORD src1_sel:BYTE_0
	global_load_dwordx4 v[0:3], v0, s[12:13]
	ds_read_u16 v47, v12 offset:750
	ds_read_u16 v48, v12 offset:1500
	;; [unrolled: 1-line block ×13, first 2 shown]
	s_waitcnt vmcnt(2) lgkmcnt(12)
	v_mul_f16_sdwa v59, v47, v39 dst_sel:DWORD dst_unused:UNUSED_PAD src0_sel:DWORD src1_sel:WORD_1
	v_mul_f16_sdwa v61, v37, v39 dst_sel:DWORD dst_unused:UNUSED_PAD src0_sel:DWORD src1_sel:WORD_1
	s_waitcnt lgkmcnt(11)
	v_mul_f16_sdwa v62, v48, v40 dst_sel:DWORD dst_unused:UNUSED_PAD src0_sel:DWORD src1_sel:WORD_1
	v_mul_f16_sdwa v63, v35, v40 dst_sel:DWORD dst_unused:UNUSED_PAD src0_sel:DWORD src1_sel:WORD_1
	v_fma_f16 v37, v37, v39, -v59
	s_waitcnt lgkmcnt(10)
	v_mul_f16_sdwa v59, v49, v41 dst_sel:DWORD dst_unused:UNUSED_PAD src0_sel:DWORD src1_sel:WORD_1
	v_fmac_f16_e32 v61, v47, v39
	v_mul_f16_sdwa v39, v38, v41 dst_sel:DWORD dst_unused:UNUSED_PAD src0_sel:DWORD src1_sel:WORD_1
	v_fma_f16 v35, v35, v40, -v62
	s_waitcnt lgkmcnt(9)
	v_mul_f16_sdwa v47, v50, v42 dst_sel:DWORD dst_unused:UNUSED_PAD src0_sel:DWORD src1_sel:WORD_1
	v_fmac_f16_e32 v63, v48, v40
	v_mul_f16_sdwa v40, v36, v42 dst_sel:DWORD dst_unused:UNUSED_PAD src0_sel:DWORD src1_sel:WORD_1
	v_fma_f16 v38, v38, v41, -v59
	v_fmac_f16_e32 v39, v49, v41
	ds_read_u16 v41, v11
	ds_read_u16 v48, v12 offset:250
	v_fma_f16 v36, v36, v42, -v47
	s_waitcnt vmcnt(1) lgkmcnt(9)
	v_mul_f16_sdwa v47, v52, v43 dst_sel:DWORD dst_unused:UNUSED_PAD src0_sel:DWORD src1_sel:WORD_1
	v_fmac_f16_e32 v40, v50, v42
	v_mul_f16_sdwa v42, v32, v43 dst_sel:DWORD dst_unused:UNUSED_PAD src0_sel:DWORD src1_sel:WORD_1
	s_waitcnt lgkmcnt(2)
	v_mul_f16_sdwa v49, v60, v44 dst_sel:DWORD dst_unused:UNUSED_PAD src0_sel:DWORD src1_sel:WORD_1
	v_mul_f16_sdwa v50, v34, v44 dst_sel:DWORD dst_unused:UNUSED_PAD src0_sel:DWORD src1_sel:WORD_1
	;; [unrolled: 1-line block ×4, first 2 shown]
	v_fma_f16 v32, v32, v43, -v47
	v_mul_f16_sdwa v47, v54, v46 dst_sel:DWORD dst_unused:UNUSED_PAD src0_sel:DWORD src1_sel:WORD_1
	v_fmac_f16_e32 v42, v52, v43
	v_mul_f16_sdwa v43, v31, v46 dst_sel:DWORD dst_unused:UNUSED_PAD src0_sel:DWORD src1_sel:WORD_1
	v_fma_f16 v34, v34, v44, -v49
	v_fmac_f16_e32 v50, v60, v44
	v_fma_f16 v33, v33, v45, -v59
	v_fmac_f16_e32 v62, v56, v45
	;; [unrolled: 2-line block ×3, first 2 shown]
	s_waitcnt vmcnt(0)
	v_mul_f16_sdwa v44, v53, v0 dst_sel:DWORD dst_unused:UNUSED_PAD src0_sel:DWORD src1_sel:WORD_1
	v_mul_f16_sdwa v45, v28, v0 dst_sel:DWORD dst_unused:UNUSED_PAD src0_sel:DWORD src1_sel:WORD_1
	;; [unrolled: 1-line block ×8, first 2 shown]
	v_fma_f16 v28, v28, v0, -v44
	v_fmac_f16_e32 v45, v53, v0
	v_fma_f16 v0, v27, v1, -v46
	v_fmac_f16_e32 v47, v51, v1
	;; [unrolled: 2-line block ×4, first 2 shown]
	v_add_f16_e32 v3, v18, v37
	v_add_f16_e32 v27, v35, v38
	v_sub_f16_e32 v29, v37, v35
	v_sub_f16_e32 v30, v36, v38
	;; [unrolled: 1-line block ×4, first 2 shown]
	v_add_f16_e32 v51, v63, v39
	v_sub_f16_e32 v53, v61, v63
	v_sub_f16_e32 v54, v40, v39
	v_add_f16_e32 v55, v61, v40
	s_waitcnt lgkmcnt(1)
	v_add_f16_e32 v57, v41, v61
	v_add_f16_e32 v44, v37, v36
	v_sub_f16_e32 v59, v63, v61
	v_add_f16_e32 v29, v29, v30
	v_sub_f16_e32 v30, v35, v38
	v_fma_f16 v27, -0.5, v27, v18
	v_sub_f16_e32 v61, v61, v40
	v_add_f16_e32 v46, v46, v49
	v_add_f16_e32 v49, v53, v54
	v_fma_f16 v51, -0.5, v51, v41
	v_fmac_f16_e32 v41, -0.5, v55
	v_add_f16_e32 v3, v3, v35
	v_add_f16_e32 v35, v57, v63
	;; [unrolled: 1-line block ×4, first 2 shown]
	v_sub_f16_e32 v60, v39, v40
	v_fmac_f16_e32 v18, -0.5, v44
	v_sub_f16_e32 v44, v63, v39
	v_add_f16_e32 v57, v17, v28
	v_add_f16_e32 v35, v35, v39
	v_fma_f16 v39, -0.5, v54, v17
	v_fmac_f16_e32 v17, -0.5, v55
	v_fmamk_f16 v55, v61, 0x3b9c, v27
	v_fmac_f16_e32 v27, 0xbb9c, v61
	v_sub_f16_e32 v37, v37, v36
	v_add_f16_e32 v53, v59, v60
	v_sub_f16_e32 v59, v28, v0
	v_sub_f16_e32 v60, v2, v1
	v_fmac_f16_e32 v55, 0x38b4, v44
	v_fmac_f16_e32 v27, 0xb8b4, v44
	v_add_f16_e32 v3, v3, v38
	v_add_f16_e32 v57, v57, v0
	;; [unrolled: 1-line block ×3, first 2 shown]
	v_fmamk_f16 v60, v37, 0xbb9c, v51
	v_fmac_f16_e32 v51, 0x3b9c, v37
	v_add_f16_e32 v35, v35, v40
	v_fmac_f16_e32 v55, 0x34f2, v29
	v_fmac_f16_e32 v27, 0x34f2, v29
	v_sub_f16_e32 v29, v0, v28
	v_sub_f16_e32 v40, v1, v2
	v_sub_f16_e32 v63, v45, v56
	v_sub_f16_e32 v38, v47, v52
	v_fmamk_f16 v59, v44, 0xbb9c, v18
	v_fmac_f16_e32 v18, 0x3b9c, v44
	v_add_f16_e32 v3, v3, v36
	v_fmamk_f16 v36, v30, 0x3b9c, v41
	v_fmac_f16_e32 v41, 0xbb9c, v30
	v_fmac_f16_e32 v60, 0xb8b4, v30
	;; [unrolled: 1-line block ×3, first 2 shown]
	v_add_f16_e32 v30, v57, v1
	v_add_f16_e32 v29, v29, v40
	;; [unrolled: 1-line block ×3, first 2 shown]
	v_fmac_f16_e32 v59, 0x38b4, v61
	v_fmac_f16_e32 v18, 0xb8b4, v61
	;; [unrolled: 1-line block ×4, first 2 shown]
	v_fmamk_f16 v37, v63, 0x3b9c, v39
	v_fmac_f16_e32 v39, 0xbb9c, v63
	v_fmac_f16_e32 v60, 0x34f2, v49
	;; [unrolled: 1-line block ×3, first 2 shown]
	v_add_f16_e32 v30, v30, v2
	v_sub_f16_e32 v2, v28, v2
	v_fmamk_f16 v28, v38, 0xbb9c, v17
	s_waitcnt lgkmcnt(0)
	v_add_f16_e32 v44, v48, v45
	v_fma_f16 v40, -0.5, v40, v48
	v_fmac_f16_e32 v17, 0x3b9c, v38
	v_add_f16_e32 v49, v45, v56
	v_fmac_f16_e32 v59, 0x34f2, v46
	v_fmac_f16_e32 v18, 0x34f2, v46
	;; [unrolled: 1-line block ×4, first 2 shown]
	v_sub_f16_e32 v0, v0, v1
	v_sub_f16_e32 v1, v45, v47
	;; [unrolled: 1-line block ×3, first 2 shown]
	v_fmac_f16_e32 v28, 0x38b4, v63
	v_add_f16_e32 v44, v44, v47
	v_fmac_f16_e32 v17, 0xb8b4, v63
	v_fmamk_f16 v46, v2, 0xbb9c, v40
	v_fmac_f16_e32 v48, -0.5, v49
	v_fmac_f16_e32 v40, 0x3b9c, v2
	v_add_f16_e32 v1, v1, v38
	v_add_f16_e32 v38, v44, v52
	v_fmac_f16_e32 v28, 0x34f2, v29
	v_fmac_f16_e32 v46, 0xb8b4, v0
	;; [unrolled: 1-line block ×3, first 2 shown]
	v_fmamk_f16 v44, v0, 0x3b9c, v48
	v_sub_f16_e32 v29, v47, v45
	v_sub_f16_e32 v45, v52, v56
	v_fmac_f16_e32 v40, 0x38b4, v0
	v_add_f16_e32 v47, v34, v33
	v_add_f16_e32 v49, v19, v32
	v_fmac_f16_e32 v48, 0xbb9c, v0
	v_fmac_f16_e32 v46, 0x34f2, v1
	;; [unrolled: 1-line block ×3, first 2 shown]
	v_add_f16_e32 v29, v29, v45
	v_fma_f16 v45, -0.5, v47, v19
	v_sub_f16_e32 v0, v42, v43
	v_fmac_f16_e32 v40, 0x34f2, v1
	v_fmac_f16_e32 v48, 0x38b4, v2
	v_add_f16_e32 v1, v32, v31
	v_sub_f16_e32 v2, v32, v34
	v_sub_f16_e32 v47, v31, v33
	v_add_f16_e32 v49, v49, v34
	v_fmac_f16_e32 v44, 0x34f2, v29
	v_fmamk_f16 v52, v0, 0x3b9c, v45
	v_fmac_f16_e32 v48, 0x34f2, v29
	v_sub_f16_e32 v29, v50, v62
	v_fmac_f16_e32 v19, -0.5, v1
	v_add_f16_e32 v2, v2, v47
	v_fmac_f16_e32 v45, 0xbb9c, v0
	v_add_f16_e32 v47, v49, v33
	v_fmac_f16_e32 v36, 0x34f2, v53
	v_fmac_f16_e32 v41, 0x34f2, v53
	v_sub_f16_e32 v1, v34, v32
	v_sub_f16_e32 v53, v33, v31
	v_fmac_f16_e32 v52, 0x38b4, v29
	v_fmamk_f16 v49, v29, 0xbb9c, v19
	v_fmac_f16_e32 v45, 0xb8b4, v29
	v_fmac_f16_e32 v19, 0x3b9c, v29
	v_add_f16_e32 v29, v47, v31
	v_sub_f16_e32 v31, v32, v31
	v_add_f16_e32 v32, v50, v62
	v_fmac_f16_e32 v37, 0x34f2, v54
	v_fmac_f16_e32 v39, 0x34f2, v54
	v_add_f16_e32 v1, v1, v53
	v_add_f16_e32 v53, v58, v42
	v_fma_f16 v54, -0.5, v32, v58
	v_fmac_f16_e32 v52, 0x34f2, v2
	v_fmac_f16_e32 v49, 0x38b4, v0
	;; [unrolled: 1-line block ×3, first 2 shown]
	v_sub_f16_e32 v2, v42, v50
	v_sub_f16_e32 v47, v43, v62
	v_fmac_f16_e32 v19, 0xb8b4, v0
	v_sub_f16_e32 v0, v34, v33
	v_add_f16_e32 v32, v42, v43
	v_add_f16_e32 v33, v53, v50
	v_fmamk_f16 v53, v31, 0xbb9c, v54
	v_fmac_f16_e32 v54, 0x3b9c, v31
	v_add_f16_e32 v2, v2, v47
	v_fmac_f16_e32 v58, -0.5, v32
	v_add_f16_e32 v38, v38, v56
	v_fmac_f16_e32 v53, 0xb8b4, v0
	v_fmac_f16_e32 v54, 0x38b4, v0
	v_fmac_f16_e32 v49, 0x34f2, v1
	v_fmac_f16_e32 v19, 0x34f2, v1
	v_fmamk_f16 v56, v0, 0x3b9c, v58
	v_fmac_f16_e32 v53, 0x34f2, v2
	v_fmac_f16_e32 v54, 0x34f2, v2
	v_sub_f16_e32 v1, v50, v42
	v_sub_f16_e32 v2, v62, v43
	v_fmac_f16_e32 v58, 0xbb9c, v0
	v_mov_b32_e32 v0, 1
	v_fmac_f16_e32 v56, 0xb8b4, v31
	v_add_f16_e32 v1, v1, v2
	v_fmac_f16_e32 v58, 0x38b4, v31
	v_mad_u32_u24 v2, v21, 50, 0
	v_lshlrev_b32_sdwa v21, v0, v24 dst_sel:DWORD dst_unused:UNUSED_PAD src0_sel:DWORD src1_sel:BYTE_0
	v_and_b32_e32 v24, 0xffff, v26
	v_fmac_f16_e32 v56, 0x34f2, v1
	v_fmac_f16_e32 v58, 0x34f2, v1
	s_barrier
	v_add3_u32 v21, v2, v21, v14
	v_mad_u32_u24 v1, v24, 50, 0
	v_lshlrev_b32_sdwa v2, v0, v25 dst_sel:DWORD dst_unused:UNUSED_PAD src0_sel:DWORD src1_sel:BYTE_0
	buffer_gl0_inv
	ds_write_b16 v21, v3
	ds_write_b16 v21, v55 offset:10
	v_add_f16_e32 v32, v33, v62
	v_add3_u32 v42, v1, v2, v14
	v_mad_u32_u24 v1, v22, 50, 0
	v_lshlrev_b32_sdwa v2, v0, v23 dst_sel:DWORD dst_unused:UNUSED_PAD src0_sel:DWORD src1_sel:WORD_0
	ds_write_b16 v21, v59 offset:20
	ds_write_b16 v21, v18 offset:30
	;; [unrolled: 1-line block ×3, first 2 shown]
	ds_write_b16 v42, v30
	v_add_f16_e32 v47, v32, v43
	v_add3_u32 v18, v1, v2, v14
	ds_write_b16 v42, v37 offset:10
	ds_write_b16 v42, v28 offset:20
	;; [unrolled: 1-line block ×4, first 2 shown]
	ds_write_b16 v18, v29
	ds_write_b16 v18, v52 offset:10
	ds_write_b16 v18, v49 offset:20
	;; [unrolled: 1-line block ×4, first 2 shown]
	v_mov_b32_e32 v17, 0x47af
	v_mul_lo_u16 v19, v16, 25
	s_waitcnt lgkmcnt(0)
	s_barrier
	buffer_gl0_inv
	v_mul_u32_u24_sdwa v17, v8, v17 dst_sel:DWORD dst_unused:UNUSED_PAD src0_sel:WORD_0 src1_sel:DWORD
	ds_read_u16 v2, v11
	ds_read_u16 v1, v12 offset:250
	ds_read_u16 v25, v12 offset:1750
	;; [unrolled: 1-line block ×14, first 2 shown]
	s_waitcnt lgkmcnt(0)
	s_barrier
	buffer_gl0_inv
	ds_write_b16 v21, v35
	ds_write_b16 v21, v60 offset:10
	ds_write_b16 v21, v36 offset:20
	;; [unrolled: 1-line block ×4, first 2 shown]
	ds_write_b16 v42, v38
	v_lshrrev_b32_e32 v21, 16, v17
	v_sub_nc_u16 v17, v10, v19
	v_mul_lo_u16 v19, v20, 41
	ds_write_b16 v42, v46 offset:10
	ds_write_b16 v42, v44 offset:20
	;; [unrolled: 1-line block ×4, first 2 shown]
	ds_write_b16 v18, v47
	ds_write_b16 v18, v53 offset:10
	ds_write_b16 v18, v56 offset:20
	;; [unrolled: 1-line block ×3, first 2 shown]
	v_sub_nc_u16 v20, v8, v21
	ds_write_b16 v18, v54 offset:40
	v_lshrrev_b16 v18, 10, v19
	v_lshlrev_b32_sdwa v30, v15, v17 dst_sel:DWORD dst_unused:UNUSED_PAD src0_sel:DWORD src1_sel:BYTE_0
	s_waitcnt lgkmcnt(0)
	v_lshrrev_b16 v19, 1, v20
	s_barrier
	v_mul_lo_u16 v20, v18, 25
	buffer_gl0_inv
	global_load_dwordx4 v[35:38], v30, s[12:13] offset:80
	v_add_nc_u16 v19, v19, v21
	v_and_b32_e32 v16, 0xffff, v16
	v_sub_nc_u16 v21, v9, v20
	v_lshlrev_b32_sdwa v17, v0, v17 dst_sel:DWORD dst_unused:UNUSED_PAD src0_sel:DWORD src1_sel:BYTE_0
	v_and_b32_e32 v18, 0xffff, v18
	v_lshrrev_b16 v19, 4, v19
	v_mad_u32_u24 v16, 0xfa, v16, 0
	v_lshlrev_b32_sdwa v20, v15, v21 dst_sel:DWORD dst_unused:UNUSED_PAD src0_sel:DWORD src1_sel:BYTE_0
	global_load_dwordx4 v[39:42], v20, s[12:13] offset:80
	v_mul_lo_u16 v30, v19, 25
	v_sub_nc_u16 v20, v8, v30
	v_lshlrev_b32_sdwa v15, v15, v20 dst_sel:DWORD dst_unused:UNUSED_PAD src0_sel:DWORD src1_sel:WORD_0
	global_load_dwordx4 v[43:46], v15, s[12:13] offset:80
	ds_read_u16 v47, v12 offset:750
	ds_read_u16 v48, v12 offset:1500
	ds_read_u16 v49, v12 offset:2250
	ds_read_u16 v50, v12 offset:3000
	ds_read_u16 v51, v12 offset:1000
	ds_read_u16 v52, v12 offset:1750
	ds_read_u16 v53, v12 offset:2500
	ds_read_u16 v54, v12 offset:1250
	ds_read_u16 v55, v12 offset:3250
	ds_read_u16 v56, v12 offset:3500
	ds_read_u16 v57, v12 offset:2750
	ds_read_u16 v15, v11
	ds_read_u16 v30, v12 offset:250
	ds_read_u16 v58, v12 offset:500
	;; [unrolled: 1-line block ×3, first 2 shown]
	s_waitcnt vmcnt(0) lgkmcnt(0)
	s_barrier
	buffer_gl0_inv
	v_mul_f16_sdwa v59, v47, v35 dst_sel:DWORD dst_unused:UNUSED_PAD src0_sel:DWORD src1_sel:WORD_1
	v_mul_f16_sdwa v61, v33, v35 dst_sel:DWORD dst_unused:UNUSED_PAD src0_sel:DWORD src1_sel:WORD_1
	v_mul_f16_sdwa v62, v48, v36 dst_sel:DWORD dst_unused:UNUSED_PAD src0_sel:DWORD src1_sel:WORD_1
	v_mul_f16_sdwa v63, v31, v36 dst_sel:DWORD dst_unused:UNUSED_PAD src0_sel:DWORD src1_sel:WORD_1
	v_fma_f16 v33, v33, v35, -v59
	v_mul_f16_sdwa v59, v49, v37 dst_sel:DWORD dst_unused:UNUSED_PAD src0_sel:DWORD src1_sel:WORD_1
	v_fmac_f16_e32 v61, v47, v35
	v_mul_f16_sdwa v35, v34, v37 dst_sel:DWORD dst_unused:UNUSED_PAD src0_sel:DWORD src1_sel:WORD_1
	v_fma_f16 v31, v31, v36, -v62
	v_mul_f16_sdwa v47, v50, v38 dst_sel:DWORD dst_unused:UNUSED_PAD src0_sel:DWORD src1_sel:WORD_1
	v_fmac_f16_e32 v63, v48, v36
	v_mul_f16_sdwa v36, v32, v38 dst_sel:DWORD dst_unused:UNUSED_PAD src0_sel:DWORD src1_sel:WORD_1
	;; [unrolled: 4-line block ×4, first 2 shown]
	v_mul_f16_sdwa v49, v53, v41 dst_sel:DWORD dst_unused:UNUSED_PAD src0_sel:DWORD src1_sel:WORD_1
	v_mul_f16_sdwa v50, v29, v41 dst_sel:DWORD dst_unused:UNUSED_PAD src0_sel:DWORD src1_sel:WORD_1
	;; [unrolled: 1-line block ×4, first 2 shown]
	v_fma_f16 v28, v28, v39, -v48
	v_fmac_f16_e32 v37, v51, v39
	v_fma_f16 v25, v25, v40, -v47
	v_fmac_f16_e32 v38, v52, v40
	v_mul_f16_sdwa v39, v22, v43 dst_sel:DWORD dst_unused:UNUSED_PAD src0_sel:DWORD src1_sel:WORD_1
	v_mul_f16_sdwa v47, v60, v44 dst_sel:DWORD dst_unused:UNUSED_PAD src0_sel:DWORD src1_sel:WORD_1
	;; [unrolled: 1-line block ×3, first 2 shown]
	v_fma_f16 v29, v29, v41, -v49
	v_mul_f16_sdwa v49, v57, v45 dst_sel:DWORD dst_unused:UNUSED_PAD src0_sel:DWORD src1_sel:WORD_1
	v_fmac_f16_e32 v50, v53, v41
	v_mul_f16_sdwa v41, v24, v45 dst_sel:DWORD dst_unused:UNUSED_PAD src0_sel:DWORD src1_sel:WORD_1
	v_fma_f16 v27, v27, v42, -v59
	v_mul_f16_sdwa v51, v56, v46 dst_sel:DWORD dst_unused:UNUSED_PAD src0_sel:DWORD src1_sel:WORD_1
	v_fmac_f16_e32 v62, v55, v42
	v_mul_f16_sdwa v42, v23, v46 dst_sel:DWORD dst_unused:UNUSED_PAD src0_sel:DWORD src1_sel:WORD_1
	v_mul_f16_sdwa v48, v54, v43 dst_sel:DWORD dst_unused:UNUSED_PAD src0_sel:DWORD src1_sel:WORD_1
	v_fmac_f16_e32 v39, v54, v43
	v_fma_f16 v26, v26, v44, -v47
	v_fmac_f16_e32 v40, v60, v44
	v_fma_f16 v24, v24, v45, -v49
	v_fmac_f16_e32 v41, v57, v45
	v_fma_f16 v23, v23, v46, -v51
	v_fmac_f16_e32 v42, v56, v46
	v_add_f16_e32 v44, v31, v34
	v_sub_f16_e32 v45, v33, v31
	v_sub_f16_e32 v46, v32, v34
	v_add_f16_e32 v47, v33, v32
	v_add_f16_e32 v52, v63, v35
	v_sub_f16_e32 v53, v61, v63
	v_sub_f16_e32 v54, v36, v35
	v_add_f16_e32 v55, v61, v36
	v_sub_f16_e32 v56, v63, v61
	v_sub_f16_e32 v57, v35, v36
	;; [unrolled: 1-line block ×4, first 2 shown]
	v_fma_f16 v22, v22, v43, -v48
	v_add_f16_e32 v43, v2, v33
	v_sub_f16_e32 v48, v31, v33
	v_sub_f16_e32 v49, v34, v32
	v_add_f16_e32 v51, v15, v61
	v_add_f16_e32 v45, v45, v46
	;; [unrolled: 1-line block ×3, first 2 shown]
	v_fma_f16 v44, -0.5, v44, v2
	v_fmac_f16_e32 v2, -0.5, v47
	v_add_f16_e32 v47, v28, v27
	v_add_f16_e32 v53, v53, v54
	v_sub_f16_e32 v54, v25, v28
	v_fma_f16 v52, -0.5, v52, v15
	v_fmac_f16_e32 v15, -0.5, v55
	v_sub_f16_e32 v55, v29, v27
	v_add_f16_e32 v56, v56, v57
	v_sub_f16_e32 v57, v37, v38
	v_add_f16_e32 v59, v59, v60
	;; [unrolled: 2-line block ×3, first 2 shown]
	v_add_f16_e32 v49, v1, v28
	v_fma_f16 v46, -0.5, v46, v1
	v_fmac_f16_e32 v1, -0.5, v47
	v_add_f16_e32 v47, v38, v50
	v_add_f16_e32 v54, v54, v55
	;; [unrolled: 1-line block ×5, first 2 shown]
	v_fma_f16 v47, -0.5, v47, v30
	v_add_f16_e32 v51, v51, v63
	v_fmac_f16_e32 v30, -0.5, v55
	v_sub_f16_e32 v55, v31, v34
	v_add_f16_e32 v31, v43, v31
	v_sub_f16_e32 v43, v63, v35
	v_sub_f16_e32 v63, v25, v29
	;; [unrolled: 1-line block ×3, first 2 shown]
	v_add_f16_e32 v25, v49, v25
	v_add_f16_e32 v60, v60, v38
	v_sub_f16_e32 v49, v37, v62
	v_sub_f16_e32 v37, v38, v37
	;; [unrolled: 1-line block ×3, first 2 shown]
	v_add_f16_e32 v31, v31, v34
	v_sub_f16_e32 v34, v50, v62
	v_add_f16_e32 v25, v25, v29
	v_fmamk_f16 v29, v61, 0x3b9c, v44
	v_fmac_f16_e32 v44, 0xbb9c, v61
	v_add_f16_e32 v50, v60, v50
	v_fmamk_f16 v60, v43, 0xbb9c, v2
	v_fmac_f16_e32 v2, 0x3b9c, v43
	v_sub_f16_e32 v33, v33, v32
	v_add_f16_e32 v35, v51, v35
	v_add_f16_e32 v51, v26, v24
	v_fmac_f16_e32 v29, 0x38b4, v43
	v_fmac_f16_e32 v44, 0xb8b4, v43
	v_fmamk_f16 v43, v55, 0x3b9c, v15
	v_fmac_f16_e32 v15, 0xbb9c, v55
	v_fmac_f16_e32 v60, 0x38b4, v61
	;; [unrolled: 1-line block ×3, first 2 shown]
	v_fmamk_f16 v61, v49, 0x3b9c, v46
	v_fmac_f16_e32 v46, 0xbb9c, v49
	v_sub_f16_e32 v28, v28, v27
	v_add_f16_e32 v31, v31, v32
	v_fmamk_f16 v32, v33, 0xbb9c, v52
	v_fmac_f16_e32 v52, 0x3b9c, v33
	v_add_f16_e32 v35, v35, v36
	v_fmamk_f16 v36, v38, 0xbb9c, v1
	v_fmac_f16_e32 v1, 0x3b9c, v38
	v_fmac_f16_e32 v43, 0xb8b4, v33
	;; [unrolled: 1-line block ×3, first 2 shown]
	v_fmamk_f16 v33, v63, 0x3b9c, v30
	v_fmac_f16_e32 v61, 0x38b4, v38
	v_fmac_f16_e32 v46, 0xb8b4, v38
	;; [unrolled: 1-line block ×4, first 2 shown]
	v_add_f16_e32 v34, v37, v34
	v_fmac_f16_e32 v30, 0xbb9c, v63
	v_add_f16_e32 v37, v3, v22
	v_fma_f16 v38, -0.5, v51, v3
	v_sub_f16_e32 v45, v39, v42
	v_fmac_f16_e32 v32, 0xb8b4, v55
	v_fmac_f16_e32 v52, 0x38b4, v55
	v_fmamk_f16 v55, v28, 0xbb9c, v47
	v_fmac_f16_e32 v47, 0x3b9c, v28
	v_add_f16_e32 v25, v25, v27
	v_fmac_f16_e32 v36, 0x38b4, v49
	v_fmac_f16_e32 v1, 0xb8b4, v49
	v_add_f16_e32 v27, v50, v62
	v_fmac_f16_e32 v60, 0x34f2, v48
	v_fmac_f16_e32 v2, 0x34f2, v48
	;; [unrolled: 1-line block ×4, first 2 shown]
	v_add_f16_e32 v28, v37, v26
	v_fmamk_f16 v37, v45, 0x3b9c, v38
	v_sub_f16_e32 v48, v40, v41
	v_sub_f16_e32 v49, v22, v26
	;; [unrolled: 1-line block ×3, first 2 shown]
	v_fmac_f16_e32 v38, 0xbb9c, v45
	v_add_f16_e32 v51, v22, v23
	v_fmac_f16_e32 v37, 0x38b4, v48
	v_fmac_f16_e32 v33, 0x34f2, v34
	v_add_f16_e32 v49, v49, v50
	v_fmac_f16_e32 v38, 0xb8b4, v48
	v_fmac_f16_e32 v3, -0.5, v51
	v_fmac_f16_e32 v30, 0x34f2, v34
	v_add_f16_e32 v28, v28, v24
	v_fmac_f16_e32 v37, 0x34f2, v49
	v_fmac_f16_e32 v38, 0x34f2, v49
	v_add_f16_e32 v49, v58, v39
	v_fmamk_f16 v34, v48, 0xbb9c, v3
	v_fmac_f16_e32 v3, 0x3b9c, v48
	v_add_f16_e32 v50, v40, v41
	v_sub_f16_e32 v51, v26, v22
	v_add_f16_e32 v49, v49, v40
	v_sub_f16_e32 v48, v24, v23
	v_fmac_f16_e32 v34, 0x38b4, v45
	v_fmac_f16_e32 v3, 0xb8b4, v45
	v_add_f16_e32 v28, v28, v23
	v_add_f16_e32 v45, v49, v41
	;; [unrolled: 1-line block ×3, first 2 shown]
	v_fma_f16 v50, -0.5, v50, v58
	v_sub_f16_e32 v22, v22, v23
	v_add_f16_e32 v23, v51, v48
	v_sub_f16_e32 v24, v26, v24
	v_fmac_f16_e32 v58, -0.5, v49
	v_sub_f16_e32 v26, v42, v41
	v_fmamk_f16 v48, v22, 0xbb9c, v50
	v_fmac_f16_e32 v34, 0x34f2, v23
	v_fmac_f16_e32 v3, 0x34f2, v23
	v_sub_f16_e32 v23, v39, v40
	v_fmac_f16_e32 v50, 0x3b9c, v22
	v_fmamk_f16 v49, v24, 0x3b9c, v58
	v_sub_f16_e32 v39, v40, v39
	v_sub_f16_e32 v40, v41, v42
	v_fmac_f16_e32 v58, 0xbb9c, v24
	v_fmac_f16_e32 v48, 0xb8b4, v24
	;; [unrolled: 1-line block ×4, first 2 shown]
	v_add_f16_e32 v24, v39, v40
	v_fmac_f16_e32 v58, 0x38b4, v22
	v_fmac_f16_e32 v61, 0x34f2, v59
	v_add_f16_e32 v23, v23, v26
	v_fmac_f16_e32 v32, 0x34f2, v53
	v_fmac_f16_e32 v49, 0x34f2, v24
	;; [unrolled: 1-line block ×3, first 2 shown]
	v_add3_u32 v24, v16, v17, v14
	v_mad_u32_u24 v16, 0xfa, v18, 0
	v_lshlrev_b32_sdwa v17, v0, v21 dst_sel:DWORD dst_unused:UNUSED_PAD src0_sel:DWORD src1_sel:BYTE_0
	v_and_b32_e32 v18, 0xffff, v19
	ds_write_b16 v24, v31
	ds_write_b16 v24, v29 offset:50
	v_lshlrev_b32_sdwa v0, v0, v20 dst_sel:DWORD dst_unused:UNUSED_PAD src0_sel:DWORD src1_sel:WORD_0
	v_add3_u32 v29, v16, v17, v14
	v_mad_u32_u24 v16, 0xfa, v18, 0
	v_fmac_f16_e32 v36, 0x34f2, v54
	v_fmac_f16_e32 v1, 0x34f2, v54
	;; [unrolled: 1-line block ×4, first 2 shown]
	v_add3_u32 v31, v16, v0, v14
	v_mov_b32_e32 v0, 0x625
	v_fmac_f16_e32 v48, 0x34f2, v23
	v_fmac_f16_e32 v50, 0x34f2, v23
	ds_write_b16 v24, v60 offset:100
	ds_write_b16 v24, v2 offset:150
	;; [unrolled: 1-line block ×3, first 2 shown]
	ds_write_b16 v29, v25
	ds_write_b16 v29, v61 offset:50
	ds_write_b16 v29, v36 offset:100
	;; [unrolled: 1-line block ×4, first 2 shown]
	ds_write_b16 v31, v28
	ds_write_b16 v31, v37 offset:50
	ds_write_b16 v31, v34 offset:100
	;; [unrolled: 1-line block ×4, first 2 shown]
	v_mul_u32_u24_sdwa v0, v8, v0 dst_sel:DWORD dst_unused:UNUSED_PAD src0_sel:WORD_0 src1_sel:DWORD
	s_waitcnt lgkmcnt(0)
	s_barrier
	buffer_gl0_inv
	ds_read_u16 v3, v11
	ds_read_u16 v2, v12 offset:250
	ds_read_u16 v18, v12 offset:1750
	;; [unrolled: 1-line block ×14, first 2 shown]
	s_waitcnt lgkmcnt(0)
	s_barrier
	buffer_gl0_inv
	ds_write_b16 v24, v35
	ds_write_b16 v24, v32 offset:50
	v_lshrrev_b32_e32 v32, 16, v0
	v_fmac_f16_e32 v15, 0x34f2, v56
	v_fmac_f16_e32 v52, 0x34f2, v53
	ds_write_b16 v24, v43 offset:100
	ds_write_b16 v24, v15 offset:150
	;; [unrolled: 1-line block ×3, first 2 shown]
	ds_write_b16 v29, v27
	v_sub_nc_u16 v15, v8, v32
	v_lshlrev_b32_e32 v0, 2, v10
	v_mov_b32_e32 v1, 0
	v_fmac_f16_e32 v55, 0xb8b4, v63
	v_fmac_f16_e32 v47, 0x38b4, v63
	v_lshrrev_b16 v15, 1, v15
	v_add_f16_e32 v45, v45, v42
	v_lshlrev_b64 v[27:28], 2, v[0:1]
	v_fmac_f16_e32 v55, 0x34f2, v57
	v_fmac_f16_e32 v47, 0x34f2, v57
	v_add_nc_u16 v0, v15, v32
	ds_write_b16 v29, v55 offset:50
	ds_write_b16 v29, v33 offset:100
	v_add_co_u32 v27, s0, s12, v27
	v_lshrrev_b16 v0, 6, v0
	v_add_co_ci_u32_e64 v28, s0, s13, v28, s0
	ds_write_b16 v29, v30 offset:150
	ds_write_b16 v29, v47 offset:200
	ds_write_b16 v31, v45
	v_mul_lo_u16 v0, 0x7d, v0
	ds_write_b16 v31, v48 offset:50
	ds_write_b16 v31, v49 offset:100
	;; [unrolled: 1-line block ×4, first 2 shown]
	s_waitcnt lgkmcnt(0)
	v_sub_nc_u16 v0, v8, v0
	s_barrier
	buffer_gl0_inv
	global_load_dwordx4 v[27:30], v[27:28], off offset:480
	v_and_b32_e32 v15, 0xffff, v0
	v_lshlrev_b32_e32 v0, 4, v15
	global_load_dwordx4 v[31:34], v0, s[12:13] offset:480
	ds_read_u16 v35, v12 offset:750
	ds_read_u16 v38, v12 offset:1500
	ds_read_u16 v39, v12 offset:2250
	ds_read_u16 v40, v12 offset:3000
	ds_read_u16 v41, v12 offset:1000
	ds_read_u16 v42, v12 offset:1750
	ds_read_u16 v43, v12 offset:2500
	ds_read_u16 v24, v11
	ds_read_u16 v0, v12 offset:250
	ds_read_u16 v44, v12 offset:1250
	;; [unrolled: 1-line block ×7, first 2 shown]
	s_waitcnt vmcnt(0) lgkmcnt(0)
	s_barrier
	buffer_gl0_inv
	v_mul_f16_sdwa v50, v35, v27 dst_sel:DWORD dst_unused:UNUSED_PAD src0_sel:DWORD src1_sel:WORD_1
	v_mul_f16_sdwa v51, v21, v27 dst_sel:DWORD dst_unused:UNUSED_PAD src0_sel:DWORD src1_sel:WORD_1
	;; [unrolled: 1-line block ×13, first 2 shown]
	v_fma_f16 v21, v21, v27, -v50
	v_mul_f16_sdwa v50, v26, v29 dst_sel:DWORD dst_unused:UNUSED_PAD src0_sel:DWORD src1_sel:WORD_1
	v_fmac_f16_e32 v51, v35, v27
	v_mul_f16_sdwa v35, v45, v30 dst_sel:DWORD dst_unused:UNUSED_PAD src0_sel:DWORD src1_sel:WORD_1
	v_fma_f16 v20, v20, v28, -v52
	v_mul_f16_sdwa v52, v23, v30 dst_sel:DWORD dst_unused:UNUSED_PAD src0_sel:DWORD src1_sel:WORD_1
	v_fmac_f16_e32 v53, v38, v28
	v_mul_f16_sdwa v38, v44, v31 dst_sel:DWORD dst_unused:UNUSED_PAD src0_sel:DWORD src1_sel:WORD_1
	;; [unrolled: 4-line block ×5, first 2 shown]
	v_fma_f16 v18, v18, v28, -v60
	v_mul_f16_sdwa v41, v17, v34 dst_sel:DWORD dst_unused:UNUSED_PAD src0_sel:DWORD src1_sel:WORD_1
	v_fmac_f16_e32 v61, v42, v28
	v_fma_f16 v26, v26, v29, -v62
	v_fmac_f16_e32 v50, v43, v29
	v_fma_f16 v23, v23, v30, -v35
	;; [unrolled: 2-line block ×5, first 2 shown]
	v_fmac_f16_e32 v58, v47, v33
	v_add_f16_e32 v28, v20, v37
	v_sub_f16_e32 v29, v21, v20
	v_sub_f16_e32 v30, v36, v37
	v_add_f16_e32 v31, v21, v36
	v_sub_f16_e32 v32, v20, v21
	v_sub_f16_e32 v33, v37, v36
	;; [unrolled: 1-line block ×4, first 2 shown]
	v_fma_f16 v17, v17, v34, -v27
	v_fmac_f16_e32 v41, v46, v34
	v_add_f16_e32 v27, v3, v21
	v_add_f16_e32 v35, v53, v55
	;; [unrolled: 1-line block ×3, first 2 shown]
	v_sub_f16_e32 v42, v53, v51
	v_sub_f16_e32 v43, v55, v57
	v_add_f16_e32 v45, v18, v26
	v_sub_f16_e32 v46, v19, v18
	v_sub_f16_e32 v47, v23, v26
	v_add_f16_e32 v48, v19, v23
	;; [unrolled: 3-line block ×3, first 2 shown]
	v_sub_f16_e32 v30, v59, v61
	v_fma_f16 v28, -0.5, v28, v3
	v_fmac_f16_e32 v3, -0.5, v31
	v_sub_f16_e32 v31, v52, v50
	v_add_f16_e32 v32, v32, v33
	v_add_f16_e32 v33, v61, v50
	;; [unrolled: 1-line block ×6, first 2 shown]
	v_fma_f16 v35, -0.5, v35, v24
	v_fmac_f16_e32 v24, -0.5, v40
	v_add_f16_e32 v40, v0, v59
	v_add_f16_e32 v42, v42, v43
	v_sub_f16_e32 v43, v61, v59
	v_add_f16_e32 v46, v46, v47
	v_sub_f16_e32 v47, v50, v52
	v_fma_f16 v45, -0.5, v45, v2
	v_fmac_f16_e32 v2, -0.5, v48
	v_sub_f16_e32 v48, v16, v25
	v_add_f16_e32 v60, v60, v62
	v_sub_f16_e32 v62, v17, v22
	v_add_f16_e32 v30, v30, v31
	v_add_f16_e32 v31, v25, v22
	v_fma_f16 v33, -0.5, v33, v0
	v_fmac_f16_e32 v0, -0.5, v39
	v_add_f16_e32 v39, v16, v17
	v_add_f16_e32 v43, v43, v47
	;; [unrolled: 1-line block ×4, first 2 shown]
	v_sub_f16_e32 v62, v25, v16
	v_fma_f16 v31, -0.5, v31, v14
	v_fmac_f16_e32 v14, -0.5, v39
	v_sub_f16_e32 v39, v22, v17
	v_sub_f16_e32 v21, v21, v36
	v_sub_f16_e32 v51, v51, v57
	v_add_f16_e32 v40, v40, v61
	v_add_f16_e32 v34, v34, v53
	;; [unrolled: 1-line block ×3, first 2 shown]
	v_sub_f16_e32 v62, v20, v37
	v_add_f16_e32 v20, v27, v20
	v_sub_f16_e32 v27, v53, v55
	v_sub_f16_e32 v53, v18, v26
	v_add_f16_e32 v18, v44, v18
	v_sub_f16_e32 v44, v61, v50
	v_add_f16_e32 v20, v20, v37
	v_add_f16_e32 v47, v47, v25
	;; [unrolled: 1-line block ×3, first 2 shown]
	v_fmamk_f16 v50, v51, 0x3b9c, v28
	v_fmac_f16_e32 v28, 0xbb9c, v51
	v_add_f16_e32 v20, v20, v36
	v_fmamk_f16 v36, v27, 0xbb9c, v3
	v_fmac_f16_e32 v3, 0x3b9c, v27
	v_sub_f16_e32 v19, v19, v23
	v_fmamk_f16 v63, v21, 0xbb9c, v35
	v_fmac_f16_e32 v35, 0x3b9c, v21
	v_fmac_f16_e32 v36, 0x38b4, v51
	;; [unrolled: 1-line block ×3, first 2 shown]
	v_fmamk_f16 v51, v62, 0x3b9c, v24
	v_fmac_f16_e32 v24, 0xbb9c, v62
	v_sub_f16_e32 v59, v59, v52
	v_add_f16_e32 v34, v34, v55
	v_add_f16_e32 v55, v56, v58
	v_fmac_f16_e32 v51, 0xb8b4, v21
	v_fmac_f16_e32 v24, 0x38b4, v21
	v_add_f16_e32 v21, v47, v22
	v_sub_f16_e32 v16, v16, v17
	v_fmac_f16_e32 v63, 0xb8b4, v62
	v_fmac_f16_e32 v35, 0x38b4, v62
	v_fmamk_f16 v62, v19, 0xbb9c, v33
	v_fmac_f16_e32 v33, 0x3b9c, v19
	v_add_f16_e32 v17, v21, v17
	v_add_f16_e32 v21, v54, v41
	v_sub_f16_e32 v61, v54, v41
	v_sub_f16_e32 v37, v56, v58
	v_add_f16_e32 v18, v18, v26
	v_fmac_f16_e32 v50, 0x38b4, v27
	v_fmac_f16_e32 v28, 0xb8b4, v27
	v_fmamk_f16 v27, v59, 0x3b9c, v45
	v_fmac_f16_e32 v45, 0xbb9c, v59
	v_add_f16_e32 v26, v49, v54
	v_fma_f16 v55, -0.5, v55, v49
	v_fmamk_f16 v64, v53, 0x3b9c, v0
	v_fmac_f16_e32 v0, 0xbb9c, v53
	v_fmac_f16_e32 v62, 0xb8b4, v53
	v_fmac_f16_e32 v33, 0x38b4, v53
	v_sub_f16_e32 v22, v25, v22
	v_fmac_f16_e32 v49, -0.5, v21
	v_add_f16_e32 v34, v34, v57
	v_fmamk_f16 v57, v44, 0xbb9c, v2
	v_fmac_f16_e32 v2, 0x3b9c, v44
	v_add_f16_e32 v18, v18, v23
	v_fmac_f16_e32 v27, 0x38b4, v44
	v_fmac_f16_e32 v45, 0xb8b4, v44
	v_fmamk_f16 v23, v61, 0x3b9c, v31
	v_fmamk_f16 v44, v37, 0xbb9c, v14
	v_fmac_f16_e32 v14, 0x3b9c, v37
	v_fmac_f16_e32 v31, 0xbb9c, v61
	;; [unrolled: 1-line block ×10, first 2 shown]
	v_add_f16_e32 v19, v26, v56
	v_fmamk_f16 v29, v16, 0xbb9c, v55
	v_sub_f16_e32 v21, v54, v56
	v_sub_f16_e32 v25, v41, v58
	v_fmac_f16_e32 v55, 0x3b9c, v16
	v_fmamk_f16 v30, v22, 0x3b9c, v49
	v_sub_f16_e32 v26, v56, v54
	v_sub_f16_e32 v32, v58, v41
	v_fmac_f16_e32 v49, 0xbb9c, v22
	v_fmac_f16_e32 v57, 0x38b4, v59
	;; [unrolled: 1-line block ×8, first 2 shown]
	v_add_f16_e32 v19, v19, v58
	v_fmac_f16_e32 v29, 0xb8b4, v22
	v_add_f16_e32 v21, v21, v25
	v_fmac_f16_e32 v55, 0x38b4, v22
	v_fmac_f16_e32 v30, 0xb8b4, v16
	v_add_f16_e32 v22, v26, v32
	v_fmac_f16_e32 v49, 0x38b4, v16
	v_fmac_f16_e32 v57, 0x34f2, v60
	;; [unrolled: 1-line block ×6, first 2 shown]
	ds_write_b16 v12, v20
	ds_write_b16 v12, v50 offset:250
	ds_write_b16 v12, v36 offset:500
	;; [unrolled: 1-line block ×5, first 2 shown]
	v_lshl_add_u32 v3, v15, 1, v13
	v_fmac_f16_e32 v31, 0x34f2, v48
	v_fmac_f16_e32 v44, 0x34f2, v39
	v_add_f16_e32 v32, v19, v41
	v_fmac_f16_e32 v29, 0x34f2, v21
	v_fmac_f16_e32 v55, 0x34f2, v21
	;; [unrolled: 1-line block ×4, first 2 shown]
	ds_write_b16 v12, v27 offset:1500
	ds_write_b16 v12, v57 offset:1750
	;; [unrolled: 1-line block ×9, first 2 shown]
	s_waitcnt lgkmcnt(0)
	s_barrier
	buffer_gl0_inv
	ds_read_u16 v18, v12 offset:1750
	ds_read_u16 v20, v11
	ds_read_u16 v13, v12 offset:250
	ds_read_u16 v14, v12 offset:500
	;; [unrolled: 1-line block ×13, first 2 shown]
	v_fmac_f16_e32 v63, 0x34f2, v38
	v_fmac_f16_e32 v51, 0x34f2, v42
	;; [unrolled: 1-line block ×4, first 2 shown]
	v_add_f16_e32 v40, v40, v52
	v_fmac_f16_e32 v64, 0x34f2, v43
	v_fmac_f16_e32 v0, 0x34f2, v43
	s_waitcnt lgkmcnt(0)
	s_barrier
	buffer_gl0_inv
	ds_write_b16 v12, v34
	ds_write_b16 v12, v63 offset:250
	ds_write_b16 v12, v51 offset:500
	;; [unrolled: 1-line block ×14, first 2 shown]
	s_waitcnt lgkmcnt(0)
	s_barrier
	buffer_gl0_inv
	s_and_saveexec_b32 s0, vcc_lo
	s_cbranch_execz .LBB0_15
; %bb.14:
	v_lshlrev_b32_e32 v2, 1, v10
	v_mov_b32_e32 v3, v1
	v_mul_hi_u32 v42, 0xd1b71759, v10
	v_add_nc_u32_e32 v43, 0x7d, v10
	v_mul_lo_u32 v41, s2, v7
	v_add_nc_u32_e32 v0, 0x3e8, v2
	v_lshlrev_b64 v[29:30], 2, v[2:3]
	v_mad_u64_u32 v[39:40], null, s2, v6, 0
	v_add_nc_u32_e32 v46, 0x1f4, v10
	v_lshlrev_b64 v[31:32], 2, v[0:1]
	v_add_nc_u32_e32 v0, 0x2ee, v2
	v_add_co_u32 v2, vcc_lo, s12, v29
	v_add_co_ci_u32_e32 v3, vcc_lo, s13, v30, vcc_lo
	v_add_co_u32 v24, vcc_lo, s12, v31
	v_add_co_ci_u32_e32 v30, vcc_lo, s13, v32, vcc_lo
	v_add_co_u32 v2, vcc_lo, 0x800, v2
	v_lshlrev_b64 v[31:32], 2, v[0:1]
	v_add_co_ci_u32_e32 v3, vcc_lo, 0, v3, vcc_lo
	v_add_co_u32 v29, vcc_lo, 0x800, v24
	v_add_co_ci_u32_e32 v30, vcc_lo, 0, v30, vcc_lo
	v_add_co_u32 v0, vcc_lo, s12, v31
	s_clause 0x1
	global_load_dwordx2 v[33:34], v[2:3], off offset:432
	global_load_dwordx2 v[35:36], v[29:30], off offset:432
	v_add_co_ci_u32_e32 v3, vcc_lo, s13, v32, vcc_lo
	v_add_co_u32 v2, vcc_lo, 0x800, v0
	v_lshlrev_b32_e32 v0, 1, v8
	v_add_co_ci_u32_e32 v3, vcc_lo, 0, v3, vcc_lo
	v_mul_hi_u32 v47, 0xd1b71759, v43
	v_lshrrev_b32_e32 v50, 9, v42
	v_add_nc_u32_e32 v44, 0xfa, v10
	global_load_dwordx2 v[37:38], v[2:3], off offset:432
	v_lshlrev_b64 v[2:3], 2, v[0:1]
	v_add_nc_u32_e32 v45, 0x177, v10
	v_mul_u32_u24_e32 v50, 0x271, v50
	v_mul_hi_u32 v48, 0xd1b71759, v44
	v_lshrrev_b32_e32 v47, 9, v47
	v_lshlrev_b64 v[4:5], 2, v[4:5]
	v_add_co_u32 v0, vcc_lo, s12, v2
	v_add_co_ci_u32_e32 v3, vcc_lo, s13, v3, vcc_lo
	v_mul_hi_u32 v49, 0xd1b71759, v45
	v_add_co_u32 v2, vcc_lo, 0x800, v0
	v_add_co_ci_u32_e32 v3, vcc_lo, 0, v3, vcc_lo
	v_lshlrev_b32_e32 v0, 1, v9
	v_lshrrev_b32_e32 v51, 9, v48
	v_mov_b32_e32 v42, v1
	global_load_dwordx2 v[8:9], v[2:3], off offset:432
	v_lshrrev_b32_e32 v55, 9, v49
	v_lshlrev_b64 v[2:3], 2, v[0:1]
	v_mul_u32_u24_e32 v48, 0x271, v51
	v_mul_u32_u24_e32 v49, 0x271, v55
	v_add_co_u32 v0, vcc_lo, s12, v2
	v_add_co_ci_u32_e32 v3, vcc_lo, s13, v3, vcc_lo
	v_sub_nc_u32_e32 v53, v44, v48
	v_add_co_u32 v2, vcc_lo, 0x800, v0
	v_add_co_ci_u32_e32 v3, vcc_lo, 0, v3, vcc_lo
	v_mul_lo_u32 v0, s3, v6
	v_sub_nc_u32_e32 v56, v45, v49
	global_load_dwordx2 v[2:3], v[2:3], off offset:432
	ds_read_u16 v63, v12 offset:3500
	ds_read_u16 v64, v12 offset:3250
	;; [unrolled: 1-line block ×14, first 2 shown]
	ds_read_u16 v70, v11
	v_mov_b32_e32 v11, v1
	v_mov_b32_e32 v12, v1
	v_add3_u32 v40, v40, v41, v0
	v_mul_hi_u32 v0, 0xd1b71759, v46
	v_mov_b32_e32 v41, v1
	v_lshlrev_b64 v[39:40], 2, v[39:40]
	v_lshrrev_b32_e32 v61, 9, v0
	v_sub_nc_u32_e32 v0, v10, v50
	v_mul_u32_u24_e32 v10, 0x271, v47
	v_add_co_u32 v39, vcc_lo, s10, v39
	v_add_co_ci_u32_e32 v40, vcc_lo, s11, v40, vcc_lo
	v_lshlrev_b32_e32 v52, 2, v0
	v_sub_nc_u32_e32 v0, v43, v10
	v_add_co_u32 v71, vcc_lo, v39, v4
	v_add_co_ci_u32_e32 v72, vcc_lo, v40, v5, vcc_lo
	v_mad_u32_u24 v0, 0x753, v47, v0
	v_add_co_u32 v4, vcc_lo, v71, v52
	v_add_co_ci_u32_e32 v5, vcc_lo, 0, v72, vcc_lo
	v_mul_u32_u24_e32 v50, 0x271, v61
	v_lshlrev_b64 v[39:40], 2, v[0:1]
	v_add_nc_u32_e32 v10, 0x271, v0
	v_add_nc_u32_e32 v0, 0x4e2, v0
	v_add_co_u32 v43, vcc_lo, 0x800, v4
	v_add_co_ci_u32_e32 v44, vcc_lo, 0, v5, vcc_lo
	v_sub_nc_u32_e32 v62, v46, v50
	v_add_co_u32 v45, vcc_lo, 0x1000, v4
	v_lshlrev_b64 v[49:50], 2, v[0:1]
	v_mad_u32_u24 v0, 0x753, v51, v53
	v_lshlrev_b64 v[47:48], 2, v[10:11]
	v_add_co_ci_u32_e32 v46, vcc_lo, 0, v5, vcc_lo
	v_add_co_u32 v51, vcc_lo, v71, v39
	v_add_co_ci_u32_e32 v52, vcc_lo, v72, v40, vcc_lo
	v_lshlrev_b64 v[39:40], 2, v[0:1]
	v_add_nc_u32_e32 v11, 0x271, v0
	v_add_nc_u32_e32 v0, 0x4e2, v0
	v_add_co_u32 v47, vcc_lo, v71, v47
	v_add_co_ci_u32_e32 v48, vcc_lo, v72, v48, vcc_lo
	v_add_co_u32 v49, vcc_lo, v71, v49
	v_lshlrev_b64 v[53:54], 2, v[0:1]
	v_mad_u32_u24 v0, 0x753, v55, v56
	v_add_co_ci_u32_e32 v50, vcc_lo, v72, v50, vcc_lo
	v_lshlrev_b64 v[10:11], 2, v[11:12]
	v_add_co_u32 v55, vcc_lo, v71, v39
	v_add_co_ci_u32_e32 v56, vcc_lo, v72, v40, vcc_lo
	v_lshlrev_b64 v[57:58], 2, v[0:1]
	v_add_nc_u32_e32 v40, 0x271, v0
	v_add_nc_u32_e32 v0, 0x4e2, v0
	v_add_co_u32 v10, vcc_lo, v71, v10
	v_add_co_ci_u32_e32 v11, vcc_lo, v72, v11, vcc_lo
	v_lshlrev_b64 v[59:60], 2, v[0:1]
	v_mad_u32_u24 v0, 0x753, v61, v62
	v_add_co_u32 v53, vcc_lo, v71, v53
	v_lshlrev_b64 v[39:40], 2, v[40:41]
	v_add_co_ci_u32_e32 v54, vcc_lo, v72, v54, vcc_lo
	v_add_co_u32 v57, vcc_lo, v71, v57
	v_add_nc_u32_e32 v41, 0x271, v0
	v_add_co_ci_u32_e32 v58, vcc_lo, v72, v58, vcc_lo
	v_lshlrev_b64 v[61:62], 2, v[0:1]
	v_add_co_u32 v39, vcc_lo, v71, v39
	v_add_nc_u32_e32 v0, 0x4e2, v0
	v_add_co_ci_u32_e32 v40, vcc_lo, v72, v40, vcc_lo
	v_add_co_u32 v59, vcc_lo, v71, v59
	v_lshlrev_b64 v[41:42], 2, v[41:42]
	v_add_co_ci_u32_e32 v60, vcc_lo, v72, v60, vcc_lo
	v_lshlrev_b64 v[0:1], 2, v[0:1]
	v_add_co_u32 v61, vcc_lo, v71, v61
	v_add_co_ci_u32_e32 v62, vcc_lo, v72, v62, vcc_lo
	v_add_co_u32 v41, vcc_lo, v71, v41
	v_add_co_ci_u32_e32 v42, vcc_lo, v72, v42, vcc_lo
	;; [unrolled: 2-line block ×3, first 2 shown]
	s_waitcnt vmcnt(4) lgkmcnt(5)
	v_mul_f16_sdwa v12, v68, v33 dst_sel:DWORD dst_unused:UNUSED_PAD src0_sel:DWORD src1_sel:WORD_1
	v_mul_f16_sdwa v71, v65, v34 dst_sel:DWORD dst_unused:UNUSED_PAD src0_sel:DWORD src1_sel:WORD_1
	;; [unrolled: 1-line block ×4, first 2 shown]
	s_waitcnt vmcnt(3)
	v_mul_f16_sdwa v74, v66, v35 dst_sel:DWORD dst_unused:UNUSED_PAD src0_sel:DWORD src1_sel:WORD_1
	v_mul_f16_sdwa v75, v63, v36 dst_sel:DWORD dst_unused:UNUSED_PAD src0_sel:DWORD src1_sel:WORD_1
	v_fma_f16 v12, v27, v33, -v12
	v_mul_f16_sdwa v27, v26, v35 dst_sel:DWORD dst_unused:UNUSED_PAD src0_sel:DWORD src1_sel:WORD_1
	v_fma_f16 v28, v28, v34, -v71
	v_mul_f16_sdwa v71, v25, v36 dst_sel:DWORD dst_unused:UNUSED_PAD src0_sel:DWORD src1_sel:WORD_1
	v_fmac_f16_e32 v72, v33, v68
	v_fmac_f16_e32 v73, v34, v65
	v_fma_f16 v26, v26, v35, -v74
	v_fma_f16 v25, v25, v36, -v75
	v_fmac_f16_e32 v27, v35, v66
	v_fmac_f16_e32 v71, v36, v63
	s_waitcnt vmcnt(2)
	v_mul_f16_sdwa v33, v67, v37 dst_sel:DWORD dst_unused:UNUSED_PAD src0_sel:DWORD src1_sel:WORD_1
	v_mul_f16_sdwa v34, v64, v38 dst_sel:DWORD dst_unused:UNUSED_PAD src0_sel:DWORD src1_sel:WORD_1
	;; [unrolled: 1-line block ×4, first 2 shown]
	v_sub_f16_e32 v63, v12, v28
	s_waitcnt lgkmcnt(0)
	v_add_f16_e32 v66, v72, v70
	v_add_f16_e32 v68, v12, v28
	;; [unrolled: 1-line block ×3, first 2 shown]
	v_sub_f16_e32 v74, v26, v25
	v_add_f16_e32 v75, v27, v71
	v_fma_f16 v22, v22, v37, -v33
	v_fma_f16 v23, v23, v38, -v34
	v_add_f16_e32 v34, v26, v25
	v_add_f16_e32 v26, v21, v26
	v_fmac_f16_e32 v35, v37, v67
	v_fmac_f16_e32 v36, v38, v64
	s_waitcnt vmcnt(1)
	v_mul_f16_sdwa v37, v32, v8 dst_sel:DWORD dst_unused:UNUSED_PAD src0_sel:DWORD src1_sel:WORD_1
	v_mul_f16_sdwa v38, v31, v9 dst_sel:DWORD dst_unused:UNUSED_PAD src0_sel:DWORD src1_sel:WORD_1
	;; [unrolled: 1-line block ×4, first 2 shown]
	v_add_f16_e32 v65, v72, v73
	v_add_f16_e32 v33, v27, v69
	v_sub_f16_e32 v27, v27, v71
	v_add_f16_e32 v66, v73, v66
	v_fma_f16 v20, -0.5, v68, v20
	v_add_f16_e32 v12, v12, v28
	v_fma_f16 v28, -0.5, v75, v69
	v_fma_f16 v21, -0.5, v34, v21
	v_add_f16_e32 v25, v26, v25
	v_sub_f16_e32 v26, v22, v23
	v_add_f16_e32 v34, v35, v36
	v_add_f16_e32 v68, v35, v30
	;; [unrolled: 1-line block ×4, first 2 shown]
	v_fma_f16 v18, v18, v8, -v37
	v_fma_f16 v19, v19, v9, -v38
	v_fmac_f16_e32 v64, v8, v32
	v_fmac_f16_e32 v67, v9, v31
	s_waitcnt vmcnt(0)
	v_mul_f16_sdwa v8, v29, v2 dst_sel:DWORD dst_unused:UNUSED_PAD src0_sel:DWORD src1_sel:WORD_1
	v_mul_f16_sdwa v9, v24, v3 dst_sel:DWORD dst_unused:UNUSED_PAD src0_sel:DWORD src1_sel:WORD_1
	;; [unrolled: 1-line block ×4, first 2 shown]
	v_sub_f16_e32 v72, v72, v73
	v_fma_f16 v65, -0.5, v65, v70
	v_pack_b32_f16 v12, v12, v66
	v_fmamk_f16 v66, v27, 0xbaee, v21
	v_fmac_f16_e32 v21, 0x3aee, v27
	v_fma_f16 v27, -0.5, v34, v30
	v_add_f16_e32 v30, v36, v68
	v_add_f16_e32 v22, v22, v23
	v_sub_f16_e32 v23, v18, v19
	v_add_f16_e32 v68, v18, v19
	v_add_f16_e32 v18, v14, v18
	v_fma_f16 v8, v15, v2, -v8
	v_fma_f16 v9, v16, v3, -v9
	v_fmac_f16_e32 v31, v2, v29
	v_fmac_f16_e32 v32, v3, v24
	v_fmamk_f16 v37, v63, 0x3aee, v65
	v_fmac_f16_e32 v65, 0xbaee, v63
	v_fmamk_f16 v38, v72, 0xbaee, v20
	v_fmac_f16_e32 v20, 0x3aee, v72
	v_add_f16_e32 v33, v71, v33
	v_add_f16_e32 v16, v18, v19
	;; [unrolled: 1-line block ×5, first 2 shown]
	v_pack_b32_f16 v2, v20, v65
	v_sub_f16_e32 v18, v8, v9
	v_add_f16_e32 v20, v31, v6
	v_add_f16_e32 v8, v13, v8
	global_store_dword v[4:5], v12, off
	v_pack_b32_f16 v4, v25, v33
	v_sub_f16_e32 v25, v31, v32
	v_fma_f16 v6, -0.5, v19, v6
	v_fma_f16 v13, -0.5, v24, v13
	v_sub_f16_e32 v35, v35, v36
	v_add_f16_e32 v36, v64, v7
	v_sub_f16_e32 v64, v64, v67
	v_fma_f16 v7, -0.5, v34, v7
	v_fma_f16 v14, -0.5, v68, v14
	;; [unrolled: 1-line block ×3, first 2 shown]
	v_pack_b32_f16 v3, v38, v37
	v_add_f16_e32 v19, v32, v20
	v_add_f16_e32 v8, v8, v9
	v_fmamk_f16 v9, v18, 0x3aee, v6
	v_fmac_f16_e32 v6, 0xbaee, v18
	v_fmamk_f16 v18, v25, 0xbaee, v13
	v_fmac_f16_e32 v13, 0x3aee, v25
	v_add_f16_e32 v15, v67, v36
	global_store_dword v[43:44], v2, off offset:452
	global_store_dword v[45:46], v3, off offset:904
	v_pack_b32_f16 v2, v22, v30
	v_fmamk_f16 v22, v23, 0x3aee, v7
	v_fmac_f16_e32 v7, 0xbaee, v23
	v_fmamk_f16 v23, v64, 0xbaee, v14
	v_fmac_f16_e32 v14, 0x3aee, v64
	;; [unrolled: 2-line block ×5, first 2 shown]
	v_pack_b32_f16 v8, v8, v19
	v_pack_b32_f16 v6, v13, v6
	;; [unrolled: 1-line block ×10, first 2 shown]
	global_store_dword v[51:52], v8, off
	global_store_dword v[47:48], v6, off
	;; [unrolled: 1-line block ×12, first 2 shown]
.LBB0_15:
	s_endpgm
	.section	.rodata,"a",@progbits
	.p2align	6, 0x0
	.amdhsa_kernel fft_rtc_fwd_len1875_factors_5_5_5_5_3_wgs_250_tpt_125_halfLds_half_op_CI_CI_unitstride_sbrr_dirReg
		.amdhsa_group_segment_fixed_size 0
		.amdhsa_private_segment_fixed_size 0
		.amdhsa_kernarg_size 104
		.amdhsa_user_sgpr_count 6
		.amdhsa_user_sgpr_private_segment_buffer 1
		.amdhsa_user_sgpr_dispatch_ptr 0
		.amdhsa_user_sgpr_queue_ptr 0
		.amdhsa_user_sgpr_kernarg_segment_ptr 1
		.amdhsa_user_sgpr_dispatch_id 0
		.amdhsa_user_sgpr_flat_scratch_init 0
		.amdhsa_user_sgpr_private_segment_size 0
		.amdhsa_wavefront_size32 1
		.amdhsa_uses_dynamic_stack 0
		.amdhsa_system_sgpr_private_segment_wavefront_offset 0
		.amdhsa_system_sgpr_workgroup_id_x 1
		.amdhsa_system_sgpr_workgroup_id_y 0
		.amdhsa_system_sgpr_workgroup_id_z 0
		.amdhsa_system_sgpr_workgroup_info 0
		.amdhsa_system_vgpr_workitem_id 0
		.amdhsa_next_free_vgpr 76
		.amdhsa_next_free_sgpr 27
		.amdhsa_reserve_vcc 1
		.amdhsa_reserve_flat_scratch 0
		.amdhsa_float_round_mode_32 0
		.amdhsa_float_round_mode_16_64 0
		.amdhsa_float_denorm_mode_32 3
		.amdhsa_float_denorm_mode_16_64 3
		.amdhsa_dx10_clamp 1
		.amdhsa_ieee_mode 1
		.amdhsa_fp16_overflow 0
		.amdhsa_workgroup_processor_mode 1
		.amdhsa_memory_ordered 1
		.amdhsa_forward_progress 0
		.amdhsa_shared_vgpr_count 0
		.amdhsa_exception_fp_ieee_invalid_op 0
		.amdhsa_exception_fp_denorm_src 0
		.amdhsa_exception_fp_ieee_div_zero 0
		.amdhsa_exception_fp_ieee_overflow 0
		.amdhsa_exception_fp_ieee_underflow 0
		.amdhsa_exception_fp_ieee_inexact 0
		.amdhsa_exception_int_div_zero 0
	.end_amdhsa_kernel
	.text
.Lfunc_end0:
	.size	fft_rtc_fwd_len1875_factors_5_5_5_5_3_wgs_250_tpt_125_halfLds_half_op_CI_CI_unitstride_sbrr_dirReg, .Lfunc_end0-fft_rtc_fwd_len1875_factors_5_5_5_5_3_wgs_250_tpt_125_halfLds_half_op_CI_CI_unitstride_sbrr_dirReg
                                        ; -- End function
	.section	.AMDGPU.csdata,"",@progbits
; Kernel info:
; codeLenInByte = 11372
; NumSgprs: 29
; NumVgprs: 76
; ScratchSize: 0
; MemoryBound: 0
; FloatMode: 240
; IeeeMode: 1
; LDSByteSize: 0 bytes/workgroup (compile time only)
; SGPRBlocks: 3
; VGPRBlocks: 9
; NumSGPRsForWavesPerEU: 29
; NumVGPRsForWavesPerEU: 76
; Occupancy: 12
; WaveLimiterHint : 1
; COMPUTE_PGM_RSRC2:SCRATCH_EN: 0
; COMPUTE_PGM_RSRC2:USER_SGPR: 6
; COMPUTE_PGM_RSRC2:TRAP_HANDLER: 0
; COMPUTE_PGM_RSRC2:TGID_X_EN: 1
; COMPUTE_PGM_RSRC2:TGID_Y_EN: 0
; COMPUTE_PGM_RSRC2:TGID_Z_EN: 0
; COMPUTE_PGM_RSRC2:TIDIG_COMP_CNT: 0
	.text
	.p2alignl 6, 3214868480
	.fill 48, 4, 3214868480
	.type	__hip_cuid_ae1e62a3654d93b6,@object ; @__hip_cuid_ae1e62a3654d93b6
	.section	.bss,"aw",@nobits
	.globl	__hip_cuid_ae1e62a3654d93b6
__hip_cuid_ae1e62a3654d93b6:
	.byte	0                               ; 0x0
	.size	__hip_cuid_ae1e62a3654d93b6, 1

	.ident	"AMD clang version 19.0.0git (https://github.com/RadeonOpenCompute/llvm-project roc-6.4.0 25133 c7fe45cf4b819c5991fe208aaa96edf142730f1d)"
	.section	".note.GNU-stack","",@progbits
	.addrsig
	.addrsig_sym __hip_cuid_ae1e62a3654d93b6
	.amdgpu_metadata
---
amdhsa.kernels:
  - .args:
      - .actual_access:  read_only
        .address_space:  global
        .offset:         0
        .size:           8
        .value_kind:     global_buffer
      - .offset:         8
        .size:           8
        .value_kind:     by_value
      - .actual_access:  read_only
        .address_space:  global
        .offset:         16
        .size:           8
        .value_kind:     global_buffer
      - .actual_access:  read_only
        .address_space:  global
        .offset:         24
        .size:           8
        .value_kind:     global_buffer
      - .actual_access:  read_only
        .address_space:  global
        .offset:         32
        .size:           8
        .value_kind:     global_buffer
      - .offset:         40
        .size:           8
        .value_kind:     by_value
      - .actual_access:  read_only
        .address_space:  global
        .offset:         48
        .size:           8
        .value_kind:     global_buffer
      - .actual_access:  read_only
        .address_space:  global
        .offset:         56
        .size:           8
        .value_kind:     global_buffer
      - .offset:         64
        .size:           4
        .value_kind:     by_value
      - .actual_access:  read_only
        .address_space:  global
        .offset:         72
        .size:           8
        .value_kind:     global_buffer
      - .actual_access:  read_only
        .address_space:  global
        .offset:         80
        .size:           8
        .value_kind:     global_buffer
      - .actual_access:  read_only
        .address_space:  global
        .offset:         88
        .size:           8
        .value_kind:     global_buffer
      - .actual_access:  write_only
        .address_space:  global
        .offset:         96
        .size:           8
        .value_kind:     global_buffer
    .group_segment_fixed_size: 0
    .kernarg_segment_align: 8
    .kernarg_segment_size: 104
    .language:       OpenCL C
    .language_version:
      - 2
      - 0
    .max_flat_workgroup_size: 250
    .name:           fft_rtc_fwd_len1875_factors_5_5_5_5_3_wgs_250_tpt_125_halfLds_half_op_CI_CI_unitstride_sbrr_dirReg
    .private_segment_fixed_size: 0
    .sgpr_count:     29
    .sgpr_spill_count: 0
    .symbol:         fft_rtc_fwd_len1875_factors_5_5_5_5_3_wgs_250_tpt_125_halfLds_half_op_CI_CI_unitstride_sbrr_dirReg.kd
    .uniform_work_group_size: 1
    .uses_dynamic_stack: false
    .vgpr_count:     76
    .vgpr_spill_count: 0
    .wavefront_size: 32
    .workgroup_processor_mode: 1
amdhsa.target:   amdgcn-amd-amdhsa--gfx1030
amdhsa.version:
  - 1
  - 2
...

	.end_amdgpu_metadata
